;; amdgpu-corpus repo=ggml-org/llama.cpp kind=compiled arch=gfx950 opt=O3
	.amdgcn_target "amdgcn-amd-amdhsa--gfx950"
	.amdhsa_code_object_version 6
	.section	.text._ZL15flash_attn_tileILi192ELi128ELi2ELi16ELb0EEvPKcS1_S1_S1_S1_PKiPfP15HIP_vector_typeIfLj2EEffffjfiS5_IjLj3EEiiiiiiiiiiiliiliiiiil,"axG",@progbits,_ZL15flash_attn_tileILi192ELi128ELi2ELi16ELb0EEvPKcS1_S1_S1_S1_PKiPfP15HIP_vector_typeIfLj2EEffffjfiS5_IjLj3EEiiiiiiiiiiiliiliiiiil,comdat
	.globl	_ZL15flash_attn_tileILi192ELi128ELi2ELi16ELb0EEvPKcS1_S1_S1_S1_PKiPfP15HIP_vector_typeIfLj2EEffffjfiS5_IjLj3EEiiiiiiiiiiiliiliiiiil ; -- Begin function _ZL15flash_attn_tileILi192ELi128ELi2ELi16ELb0EEvPKcS1_S1_S1_S1_PKiPfP15HIP_vector_typeIfLj2EEffffjfiS5_IjLj3EEiiiiiiiiiiiliiliiiiil
	.p2align	8
	.type	_ZL15flash_attn_tileILi192ELi128ELi2ELi16ELb0EEvPKcS1_S1_S1_S1_PKiPfP15HIP_vector_typeIfLj2EEffffjfiS5_IjLj3EEiiiiiiiiiiiliiliiiiil,@function
_ZL15flash_attn_tileILi192ELi128ELi2ELi16ELb0EEvPKcS1_S1_S1_S1_PKiPfP15HIP_vector_typeIfLj2EEffffjfiS5_IjLj3EEiiiiiiiiiiiliiliiiiil: ; @_ZL15flash_attn_tileILi192ELi128ELi2ELi16ELb0EEvPKcS1_S1_S1_S1_PKiPfP15HIP_vector_typeIfLj2EEffffjfiS5_IjLj3EEiiiiiiiiiiiliiliiiiil
; %bb.0:
	s_load_dwordx4 s[28:31], s[0:1], 0x5c
	s_load_dwordx2 s[34:35], s[0:1], 0x80
	s_load_dwordx16 s[12:27], s[0:1], 0x0
	s_mov_b64 s[36:37], 0
	s_waitcnt lgkmcnt(0)
	s_ashr_i32 s5, s31, 31
	s_lshr_b32 s5, s5, 28
	s_add_i32 s5, s31, s5
	s_ashr_i32 s5, s5, 4
	v_cvt_f32_u32_e32 v1, s5
	s_sub_i32 s6, 0, s5
	v_rcp_iflag_f32_e32 v1, v1
	s_nop 0
	v_mul_f32_e32 v1, 0x4f7ffffe, v1
	v_cvt_u32_f32_e32 v1, v1
	s_nop 0
	v_readfirstlane_b32 s7, v1
	s_mul_i32 s6, s6, s7
	s_mul_hi_u32 s6, s7, s6
	s_add_i32 s7, s7, s6
	s_mul_hi_u32 s6, s4, s7
	s_mul_i32 s7, s6, s5
	s_sub_i32 s7, s4, s7
	s_add_i32 s8, s6, 1
	s_sub_i32 s9, s7, s5
	s_cmp_ge_u32 s7, s5
	s_cselect_b32 s6, s8, s6
	s_cselect_b32 s7, s9, s7
	s_add_i32 s8, s6, 1
	s_cmp_ge_u32 s7, s5
	s_cselect_b32 s33, s8, s6
	s_abs_i32 s5, s35
	v_cvt_f32_u32_e32 v1, s5
	s_lshl_b32 s4, s4, 4
	s_mul_i32 s8, s33, s31
	s_xor_b32 s6, s31, s35
	v_rcp_iflag_f32_e32 v1, v1
	s_sub_i32 s9, 0, s5
	s_sub_i32 s35, s4, s8
	s_abs_i32 s7, s31
	v_mul_f32_e32 v1, 0x4f7ffffe, v1
	v_cvt_u32_f32_e32 v1, v1
	s_ashr_i32 s6, s6, 31
	v_readfirstlane_b32 s4, v1
	s_mul_i32 s9, s9, s4
	s_mul_hi_u32 s8, s4, s9
	s_add_i32 s4, s4, s8
	s_mul_hi_u32 s4, s7, s4
	s_mul_i32 s8, s4, s5
	s_sub_i32 s7, s7, s8
	s_add_i32 s9, s4, 1
	s_sub_i32 s8, s7, s5
	s_cmp_ge_u32 s7, s5
	s_cselect_b32 s4, s9, s4
	s_cselect_b32 s7, s8, s7
	s_add_i32 s8, s4, 1
	s_cmp_ge_u32 s7, s5
	s_cselect_b32 s4, s8, s4
	s_xor_b32 s4, s4, s6
	s_sub_i32 s39, s4, s6
	s_abs_i32 s38, s39
	v_cvt_f32_u32_e32 v1, s38
	s_load_dwordx2 s[4:5], s[0:1], 0xb8
	s_cmp_eq_u64 s[18:19], 0
	v_rcp_iflag_f32_e32 v1, v1
	s_nop 0
	v_mul_f32_e32 v1, 0x4f7ffffe, v1
	v_cvt_u32_f32_e32 v1, v1
	s_nop 0
	v_readfirstlane_b32 s40, v1
	s_cbranch_scc1 .LBB0_2
; %bb.1:
	s_waitcnt lgkmcnt(0)
	s_abs_i32 s4, s4
	v_cvt_f32_u32_e32 v1, s4
	s_sub_i32 s10, 0, s4
	s_abs_i32 s9, s33
	s_ashr_i32 s8, s33, 31
	v_rcp_iflag_f32_e32 v1, v1
	s_load_dwordx2 s[6:7], s[0:1], 0xc8
	v_mul_f32_e32 v1, 0x4f7ffffe, v1
	v_cvt_u32_f32_e32 v1, v1
	s_nop 0
	v_readfirstlane_b32 s11, v1
	s_mul_i32 s10, s10, s11
	s_mul_hi_u32 s10, s11, s10
	s_add_i32 s11, s11, s10
	s_mul_hi_u32 s10, s9, s11
	s_mul_i32 s10, s10, s4
	s_sub_i32 s9, s9, s10
	s_sub_i32 s10, s9, s4
	s_cmp_ge_u32 s9, s4
	s_cselect_b32 s9, s10, s9
	s_sub_i32 s10, s9, s4
	s_cmp_ge_u32 s9, s4
	s_cselect_b32 s4, s10, s9
	s_xor_b32 s4, s4, s8
	s_sub_i32 s4, s4, s8
	s_ashr_i32 s8, s4, 31
	s_waitcnt lgkmcnt(0)
	s_mul_hi_u32 s9, s6, s4
	s_mul_i32 s8, s6, s8
	s_mul_i32 s7, s7, s4
	s_add_i32 s8, s9, s8
	s_add_i32 s8, s8, s7
	s_mul_i32 s4, s6, s4
	s_add_u32 s36, s18, s4
	s_addc_u32 s37, s19, s8
.LBB0_2:
	s_load_dwordx4 s[44:47], s[0:1], 0x70
	v_lshrrev_b32_e32 v1, 10, v0
	v_bfe_u32 v1, v1, 2, 8
	v_lshl_add_u32 v17, s2, 1, v1
	v_bfe_u32 v4, v0, 10, 10
	s_waitcnt lgkmcnt(0)
	s_mul_i32 s4, s33, s46
	s_ashr_i32 s7, s4, 31
	s_mul_i32 s6, s35, s45
	s_add_u32 s4, s12, s4
	v_and_b32_e32 v16, 0x3ff, v0
	v_mul_hi_u32 v0, s28, v17
	s_addc_u32 s7, s13, s7
	s_ashr_i32 s8, s6, 31
	v_add_u32_e32 v0, v17, v0
	s_add_u32 s6, s4, s6
	v_lshrrev_b32_e32 v0, s29, v0
	s_addc_u32 s7, s7, s8
	s_ashr_i32 s11, s45, 31
	s_mov_b32 s10, s45
	v_mul_lo_u32 v0, v0, s30
	s_ashr_i32 s45, s44, 31
	v_sub_u32_e32 v7, v17, v0
	s_lshr_b64 s[12:13], s[44:45], 2
	v_mad_u64_u32 v[0:1], s[12:13], s12, v7, 0
	v_mov_b32_e32 v2, v1
	s_lshr_b32 s4, s45, 2
	v_mad_u64_u32 v[2:3], s[12:13], s4, v7, v[2:3]
	v_lshlrev_b32_e32 v6, 2, v4
	v_mov_b32_e32 v1, v2
	s_lshr_b64 s[8:9], s[10:11], 2
	v_lshl_add_u64 v[0:1], v[0:1], 2, s[6:7]
	v_lshlrev_b32_e32 v2, 4, v16
	v_mov_b32_e32 v3, 0
	v_and_b32_e32 v32, 12, v6
	v_lshl_add_u64 v[0:1], v[0:1], 0, v[2:3]
	v_mad_u64_u32 v[2:3], s[6:7], s8, v32, 0
	v_mad_i32_i24 v3, s11, v32, v3
	v_lshl_add_u64 v[2:3], v[2:3], 2, v[0:1]
	global_load_dwordx4 v[8:11], v[2:3], off
	s_load_dword s6, s[0:1], 0x40
	s_movk_i32 s4, 0x600
	v_lshlrev_b32_e32 v5, 3, v16
	v_mul_u32_u24_e32 v34, 0x600, v4
	v_mad_u32_u24 v12, v4, s4, v5
	s_waitcnt lgkmcnt(0)
	s_mov_b32 s7, s6
	v_cmp_gt_u32_e32 vcc, 16, v16
	s_waitcnt vmcnt(0)
	v_fma_mixlo_f16 v13, s6, v8, 0
	v_mov_b32_e32 v8, v11
	v_pk_mul_f32 v[8:9], s[6:7], v[8:9] op_sel_hi:[0,1]
	v_cvt_pk_f16_f32 v8, v8, v9
	v_fma_mixlo_f16 v10, s6, v10, 0
	v_and_b32_e32 v11, 0xffff, v13
	v_lshlrev_b32_e32 v9, 16, v8
	v_and_b32_e32 v8, 0xffff0000, v8
	v_and_b32_e32 v10, 0xffff, v10
	v_or_b32_e32 v8, v8, v11
	v_or3_b32 v9, v9, v10, 0
	v_or3_b32 v8, 0, 0, v8
	ds_write_b64 v12, v[8:9]
	s_and_saveexec_b64 s[10:11], vcc
	s_cbranch_execz .LBB0_4
; %bb.3:
	global_load_dwordx4 v[8:11], v[2:3], off offset:512
	s_waitcnt vmcnt(0)
	v_fma_mixlo_f16 v2, s6, v8, 0
	v_fma_mixlo_f16 v3, s6, v10, 0
	v_mov_b32_e32 v8, v11
	v_and_b32_e32 v10, 0xffff, v2
	v_and_b32_e32 v11, 0xffff, v3
	v_pk_mul_f32 v[2:3], s[6:7], v[8:9]
	v_add_u32_e32 v8, v5, v34
	v_cvt_pk_f16_f32 v2, v2, v3
	v_lshlrev_b32_e32 v3, 16, v2
	v_and_b32_e32 v2, 0xffff0000, v2
	v_or_b32_e32 v2, v2, v10
	v_or3_b32 v3, v3, v11, 0
	v_or3_b32 v2, 0, 0, v2
	ds_write_b64 v8, v[2:3] offset:256
.LBB0_4:
	s_or_b64 exec, exec, s[10:11]
	v_bitop3_b32 v9, v6, 13, 1 bitop3:0xc8
	v_mad_u64_u32 v[2:3], s[10:11], s8, v9, 0
	v_mov_b32_e32 v8, v3
	v_mad_u64_u32 v[8:9], s[10:11], s9, v9, v[8:9]
	v_mov_b32_e32 v3, v8
	v_lshl_add_u64 v[2:3], v[2:3], 2, v[0:1]
	global_load_dwordx4 v[8:11], v[2:3], off
	v_or_b32_e32 v12, 1, v6
	s_movk_i32 s4, 0x180
	v_mul_u32_u24_e32 v13, 0x180, v12
	v_mad_u32_u24 v12, v12, s4, v5
	s_waitcnt vmcnt(0)
	v_fma_mixlo_f16 v14, s6, v8, 0
	v_mov_b32_e32 v8, v11
	v_pk_mul_f32 v[8:9], s[6:7], v[8:9]
	v_fma_mixlo_f16 v10, s6, v10, 0
	v_cvt_pk_f16_f32 v8, v8, v9
	v_and_b32_e32 v11, 0xffff, v14
	v_lshlrev_b32_e32 v9, 16, v8
	v_and_b32_e32 v8, 0xffff0000, v8
	v_and_b32_e32 v10, 0xffff, v10
	v_or_b32_e32 v8, v8, v11
	v_or3_b32 v9, v9, v10, 0
	v_or3_b32 v8, 0, 0, v8
	ds_write_b64 v12, v[8:9]
	v_add_u32_e32 v8, v5, v13
	s_and_saveexec_b64 s[10:11], vcc
	s_cbranch_execz .LBB0_6
; %bb.5:
	global_load_dwordx4 v[10:13], v[2:3], off offset:512
	s_waitcnt vmcnt(0)
	v_fma_mixlo_f16 v2, s6, v10, 0
	v_fma_mixlo_f16 v3, s6, v12, 0
	v_mov_b32_e32 v10, v13
	v_and_b32_e32 v9, 0xffff, v2
	v_and_b32_e32 v12, 0xffff, v3
	v_pk_mul_f32 v[2:3], s[6:7], v[10:11]
	s_nop 0
	v_cvt_pk_f16_f32 v2, v2, v3
	v_lshlrev_b32_e32 v3, 16, v2
	v_and_b32_e32 v2, 0xffff0000, v2
	v_or_b32_e32 v2, v2, v9
	v_or3_b32 v3, v3, v12, 0
	v_or3_b32 v2, 0, 0, v2
	ds_write_b64 v8, v[2:3] offset:256
.LBB0_6:
	s_or_b64 exec, exec, s[10:11]
	v_bitop3_b32 v9, v6, 14, 2 bitop3:0xc8
	v_mad_u64_u32 v[2:3], s[10:11], s8, v9, 0
	v_mov_b32_e32 v10, v3
	v_mad_u64_u32 v[10:11], s[10:11], s9, v9, v[10:11]
	v_mov_b32_e32 v3, v10
	v_lshl_add_u64 v[2:3], v[2:3], 2, v[0:1]
	global_load_dwordx4 v[10:13], v[2:3], off
	s_waitcnt vmcnt(0)
	v_fma_mixlo_f16 v9, s6, v10, 0
	v_mov_b32_e32 v10, v13
	v_pk_mul_f32 v[10:11], s[6:7], v[10:11]
	v_fma_mixlo_f16 v12, s6, v12, 0
	v_cvt_pk_f16_f32 v10, v10, v11
	v_and_b32_e32 v9, 0xffff, v9
	v_lshlrev_b32_e32 v11, 16, v10
	v_and_b32_e32 v10, 0xffff0000, v10
	v_and_b32_e32 v12, 0xffff, v12
	v_or_b32_e32 v9, v10, v9
	v_or3_b32 v11, v11, v12, 0
	v_or3_b32 v10, 0, 0, v9
	ds_write_b64 v8, v[10:11] offset:384
	s_and_saveexec_b64 s[10:11], vcc
	s_cbranch_execz .LBB0_8
; %bb.7:
	global_load_dwordx4 v[10:13], v[2:3], off offset:512
	s_waitcnt vmcnt(0)
	v_fma_mixlo_f16 v2, s6, v10, 0
	v_fma_mixlo_f16 v3, s6, v12, 0
	v_mov_b32_e32 v10, v13
	v_and_b32_e32 v9, 0xffff, v2
	v_and_b32_e32 v12, 0xffff, v3
	v_pk_mul_f32 v[2:3], s[6:7], v[10:11]
	s_nop 0
	v_cvt_pk_f16_f32 v2, v2, v3
	v_lshlrev_b32_e32 v3, 16, v2
	v_and_b32_e32 v2, 0xffff0000, v2
	v_or_b32_e32 v2, v2, v9
	v_or3_b32 v3, v3, v12, 0
	v_or3_b32 v2, 0, 0, v2
	ds_write_b64 v8, v[2:3] offset:640
.LBB0_8:
	s_or_b64 exec, exec, s[10:11]
	v_bitop3_b32 v9, v6, 15, 3 bitop3:0xc8
	v_mad_u64_u32 v[2:3], s[10:11], s8, v9, 0
	v_mov_b32_e32 v10, v3
	v_mad_u64_u32 v[10:11], s[8:9], s9, v9, v[10:11]
	v_mov_b32_e32 v3, v10
	v_lshl_add_u64 v[0:1], v[2:3], 2, v[0:1]
	global_load_dwordx4 v[10:13], v[0:1], off
	s_waitcnt vmcnt(0)
	v_fma_mixlo_f16 v2, s6, v10, 0
	v_fma_mixlo_f16 v3, s6, v12, 0
	v_mov_b32_e32 v10, v13
	v_and_b32_e32 v9, 0xffff, v2
	v_and_b32_e32 v12, 0xffff, v3
	v_pk_mul_f32 v[2:3], s[6:7], v[10:11]
	s_nop 0
	v_cvt_pk_f16_f32 v2, v2, v3
	v_lshlrev_b32_e32 v3, 16, v2
	v_and_b32_e32 v2, 0xffff0000, v2
	v_or_b32_e32 v2, v2, v9
	v_or3_b32 v3, v3, v12, 0
	v_or3_b32 v2, 0, 0, v2
	ds_write_b64 v8, v[2:3] offset:768
	s_and_saveexec_b64 s[8:9], vcc
	s_cbranch_execz .LBB0_10
; %bb.9:
	global_load_dwordx4 v[0:3], v[0:1], off offset:512
	s_waitcnt vmcnt(0)
	v_fma_mixlo_f16 v9, s6, v0, 0
	v_mov_b32_e32 v0, v3
	v_pk_mul_f32 v[0:1], s[6:7], v[0:1]
	v_fma_mixlo_f16 v2, s6, v2, 0
	v_cvt_pk_f16_f32 v0, v0, v1
	v_and_b32_e32 v3, 0xffff, v9
	v_lshlrev_b32_e32 v1, 16, v0
	v_and_b32_e32 v0, 0xffff0000, v0
	v_and_b32_e32 v2, 0xffff, v2
	v_or_b32_e32 v0, v0, v3
	v_or3_b32 v1, v1, v2, 0
	v_or3_b32 v0, 0, 0, v0
	ds_write_b64 v8, v[0:1] offset:1024
.LBB0_10:
	s_or_b64 exec, exec, s[8:9]
	s_cmp_eq_u64 s[22:23], 0
	s_waitcnt lgkmcnt(0)
	s_barrier
	s_cbranch_scc1 .LBB0_12
; %bb.11:
	s_load_dword s4, s[0:1], 0xd0
	s_mov_b32 s7, 0
	s_waitcnt lgkmcnt(0)
	s_mul_i32 s4, s4, s33
	s_add_i32 s6, s4, s2
	s_lshl_b64 s[6:7], s[6:7], 2
	s_add_u32 s6, s22, s6
	s_addc_u32 s7, s23, s7
	s_load_dword s34, s[6:7], 0x0
.LBB0_12:
	s_lshl_b32 s2, s3, 5
	s_waitcnt lgkmcnt(0)
	s_cmp_lt_i32 s2, s34
	v_mbcnt_lo_u32_b32 v1, -1, 0
	s_cbranch_scc1 .LBB0_15
; %bb.13:
	v_mbcnt_hi_u32_b32 v25, -1, v1
	v_and_b32_e32 v0, 0x60, v25
	v_add_u32_e32 v28, 32, v0
	v_xor_b32_e32 v37, 16, v25
	v_xor_b32_e32 v38, 8, v25
	;; [unrolled: 1-line block ×5, first 2 shown]
	v_lshlrev_b32_e32 v33, 2, v16
	s_cbranch_execz .LBB0_16
; %bb.14:
	v_mov_b32_e32 v19, 0
	v_mov_b32_e32 v53, 0
	;; [unrolled: 1-line block ×16, first 2 shown]
	s_branch .LBB0_18
.LBB0_15:
                                        ; implicit-def: $vgpr25
                                        ; implicit-def: $vgpr28
                                        ; implicit-def: $vgpr37
                                        ; implicit-def: $vgpr38
                                        ; implicit-def: $vgpr39
                                        ; implicit-def: $vgpr36
                                        ; implicit-def: $vgpr35
	v_lshlrev_b32_e32 v33, 2, v16
.LBB0_16:
	s_load_dwordx2 s[6:7], s[0:1], 0x8c
	s_load_dwordx4 s[8:11], s[0:1], 0x98
	s_sub_i32 s4, 0, s38
	s_mul_i32 s4, s4, s40
	s_mul_hi_u32 s4, s40, s4
	s_waitcnt lgkmcnt(0)
	s_ashr_i32 s23, s6, 2
	s_ashr_i32 s6, s33, 31
	;; [unrolled: 1-line block ×4, first 2 shown]
	s_mul_hi_u32 s5, s8, s33
	s_mul_i32 s29, s8, s6
	s_abs_i32 s18, s35
	s_add_i32 s40, s40, s4
	s_add_i32 s5, s5, s29
	s_mul_i32 s9, s9, s33
	s_mul_hi_u32 s4, s18, s40
	s_ashr_i32 s19, s35, 31
	s_ashr_i32 s28, s39, 31
	s_add_i32 s5, s5, s9
	s_mul_i32 s8, s8, s33
	s_add_u32 s8, s14, s8
	s_mul_i32 s14, s4, s38
	s_addc_u32 s5, s15, s5
	s_sub_i32 s14, s18, s14
	s_xor_b32 s9, s19, s28
	s_add_i32 s15, s4, 1
	s_sub_i32 s18, s14, s38
	s_cmp_ge_u32 s14, s38
	s_cselect_b32 s4, s15, s4
	s_cselect_b32 s14, s18, s14
	s_add_i32 s15, s4, 1
	s_cmp_ge_u32 s14, s38
	s_cselect_b32 s4, s15, s4
	s_load_dwordx2 s[12:13], s[0:1], 0xa8
	s_xor_b32 s4, s4, s9
	s_sub_i32 s9, s4, s9
	s_mul_i32 s4, s9, s7
	s_ashr_i32 s7, s4, 31
	s_add_u32 s4, s8, s4
	s_addc_u32 s5, s5, s7
	s_waitcnt lgkmcnt(0)
	s_mul_hi_u32 s7, s12, s33
	s_mul_i32 s6, s12, s6
	s_add_i32 s6, s7, s6
	s_mul_i32 s7, s13, s33
	s_add_i32 s6, s6, s7
	s_mul_i32 s7, s12, s33
	s_add_u32 s7, s16, s7
	s_mul_i32 s9, s9, s11
	v_lshrrev_b32_e32 v0, 3, v16
	s_addc_u32 s8, s17, s6
	s_ashr_i32 s11, s9, 31
	v_add_u32_e32 v0, v0, v6
	v_and_b32_e32 v2, 28, v33
	s_add_u32 s6, s7, s9
	v_mul_u32_u24_e32 v3, 0x90, v0
	v_lshlrev_b32_e32 v28, 2, v2
	s_movk_i32 s9, 0x3000
	v_mul_lo_u32 v2, s23, v0
	s_addc_u32 s7, s8, s11
	s_movk_i32 s8, 0x90
	v_add3_u32 v40, v3, v28, s9
	v_ashrrev_i32_e32 v3, 31, v2
	v_mov_b32_e32 v0, 0x3000
	v_lshl_add_u64 v[2:3], v[2:3], 2, s[4:5]
	v_mov_b32_e32 v29, 0
	v_mad_u32_u24 v41, v16, s8, v0
	v_mov_b32_e32 v0, 0x4200
	v_lshl_add_u64 v[22:23], v[2:3], 0, v[28:29]
	v_lshl_add_u32 v42, v4, 8, v0
	v_lshrrev_b32_e32 v0, 4, v16
	v_and_b32_e32 v2, 60, v33
	v_lshl_add_u32 v0, v4, 1, v0
	v_lshlrev_b32_e32 v28, 2, v2
	v_lshl_or_b32 v2, v0, 8, v28
	v_mad_u64_u32 v[24:25], s[4:5], v7, s10, v[16:17]
	v_add_u32_e32 v43, 0x3000, v2
	v_mul_lo_u32 v2, s22, v0
	v_ashrrev_i32_e32 v3, 31, v2
	v_mbcnt_hi_u32_b32 v25, -1, v1
	v_lshl_add_u64 v[2:3], v[2:3], 2, s[6:7]
	s_add_u32 s18, s0, 0xd0
	v_and_b32_e32 v1, 0x60, v25
	v_lshl_add_u64 v[26:27], v[2:3], 0, v[28:29]
	s_addc_u32 s19, s1, 0
	v_mov_b32_e32 v0, 0xfeffffff
	v_add_u32_e32 v28, 32, v1
	v_xor_b32_e32 v37, 16, v25
	v_xor_b32_e32 v38, 8, v25
	;; [unrolled: 1-line block ×5, first 2 shown]
	s_mov_b32 s28, 0x3fb8aa3b
	s_mov_b32 s29, 0xc2ce8ed0
	;; [unrolled: 1-line block ×3, first 2 shown]
	v_mov_b32_e32 v44, 0x7f800000
	s_mov_b32 s39, 0x10001
	v_add_u32_e32 v45, v42, v5
	v_add_u32_e32 v46, 0x3000, v5
	;; [unrolled: 1-line block ×3, first 2 shown]
	v_mov_b32_e32 v48, v29
	v_mov_b32_e32 v50, v29
	;; [unrolled: 1-line block ×14, first 2 shown]
.LBB0_17:                               ; =>This Inner Loop Header: Depth=1
	s_mul_hi_i32 s9, s2, s23
	s_mul_i32 s8, s2, s23
	v_mov_b32_e32 v61, v1
	v_mov_b32_e32 v62, v0
	v_lshl_add_u64 v[0:1], s[8:9], 2, v[22:23]
	v_mov_b32_e32 v59, v3
	v_mov_b32_e32 v60, v2
	global_load_dwordx4 v[2:5], v[0:1], off
	v_mov_b32_e32 v55, 0
	v_mov_b32_e32 v56, 0
	;; [unrolled: 1-line block ×4, first 2 shown]
	v_add_u32_e32 v30, s2, v24
	v_ashrrev_i32_e32 v31, 31, v30
	v_cmp_lt_i32_e64 s[6:7], v37, v28
	v_cmp_lt_i32_e64 s[4:5], v38, v28
	v_cmp_lt_i32_e32 vcc, v36, v28
	v_cndmask_b32_e64 v63, v25, v37, s[6:7]
	v_lshlrev_b32_e32 v63, 2, v63
	s_or_b32 s6, s2, 16
	s_waitcnt vmcnt(0)
	ds_write_b128 v40, v[2:5]
	s_waitcnt lgkmcnt(0)
	s_barrier
	ds_read_b128 v[2:5], v41
	ds_read_b128 v[6:9], v34
	ds_read_b128 v[10:13], v34 offset:384
	ds_read_b128 v[64:67], v34 offset:768
	ds_read_b128 v[68:71], v34 offset:1152
	s_waitcnt lgkmcnt(3)
	;;#ASMSTART
	v_dot2_f32_f16 v55, v2, v6, v55
	;;#ASMEND
	s_nop 0
	;;#ASMSTART
	v_dot2_f32_f16 v55, v3, v7, v55
	;;#ASMEND
	s_nop 0
	;;#ASMSTART
	v_dot2_f32_f16 v55, v4, v8, v55
	;;#ASMEND
	s_nop 0
	;;#ASMSTART
	v_dot2_f32_f16 v55, v5, v9, v55
	;;#ASMEND
	s_waitcnt lgkmcnt(2)
	;;#ASMSTART
	v_dot2_f32_f16 v56, v2, v10, v56
	;;#ASMEND
	s_nop 0
	;;#ASMSTART
	v_dot2_f32_f16 v56, v3, v11, v56
	;;#ASMEND
	s_nop 0
	;;#ASMSTART
	v_dot2_f32_f16 v56, v4, v12, v56
	;;#ASMEND
	s_nop 0
	;;#ASMSTART
	v_dot2_f32_f16 v56, v5, v13, v56
	;;#ASMEND
	s_waitcnt lgkmcnt(1)
	;;#ASMSTART
	v_dot2_f32_f16 v57, v2, v64, v57
	;;#ASMEND
	s_nop 0
	;;#ASMSTART
	v_dot2_f32_f16 v57, v3, v65, v57
	;;#ASMEND
	s_nop 0
	;;#ASMSTART
	v_dot2_f32_f16 v57, v4, v66, v57
	;;#ASMEND
	s_nop 0
	;;#ASMSTART
	v_dot2_f32_f16 v57, v5, v67, v57
	;;#ASMEND
	s_waitcnt lgkmcnt(0)
	;;#ASMSTART
	v_dot2_f32_f16 v58, v2, v68, v58
	;;#ASMEND
	s_nop 0
	;;#ASMSTART
	v_dot2_f32_f16 v58, v3, v69, v58
	;;#ASMEND
	s_nop 0
	;;#ASMSTART
	v_dot2_f32_f16 v58, v4, v70, v58
	;;#ASMEND
	s_nop 0
	;;#ASMSTART
	v_dot2_f32_f16 v58, v5, v71, v58
	;;#ASMEND
	ds_read_b128 v[2:5], v41 offset:16
	ds_read_b128 v[6:9], v34 offset:16
	;; [unrolled: 1-line block ×5, first 2 shown]
	s_waitcnt lgkmcnt(3)
	;;#ASMSTART
	v_dot2_f32_f16 v55, v2, v6, v55
	;;#ASMEND
	s_nop 0
	;;#ASMSTART
	v_dot2_f32_f16 v55, v3, v7, v55
	;;#ASMEND
	s_nop 0
	;;#ASMSTART
	v_dot2_f32_f16 v55, v4, v8, v55
	;;#ASMEND
	s_nop 0
	;;#ASMSTART
	v_dot2_f32_f16 v55, v5, v9, v55
	;;#ASMEND
	s_waitcnt lgkmcnt(2)
	;;#ASMSTART
	v_dot2_f32_f16 v56, v2, v10, v56
	;;#ASMEND
	s_nop 0
	;;#ASMSTART
	v_dot2_f32_f16 v56, v3, v11, v56
	;;#ASMEND
	s_nop 0
	;;#ASMSTART
	v_dot2_f32_f16 v56, v4, v12, v56
	;;#ASMEND
	s_nop 0
	;;#ASMSTART
	v_dot2_f32_f16 v56, v5, v13, v56
	;;#ASMEND
	;; [unrolled: 16-line block ×4, first 2 shown]
	ds_read_b128 v[2:5], v41 offset:32
	ds_read_b128 v[6:9], v34 offset:32
	;; [unrolled: 1-line block ×5, first 2 shown]
	s_waitcnt lgkmcnt(3)
	;;#ASMSTART
	v_dot2_f32_f16 v55, v2, v6, v55
	;;#ASMEND
	s_nop 0
	;;#ASMSTART
	v_dot2_f32_f16 v55, v3, v7, v55
	;;#ASMEND
	s_nop 0
	;;#ASMSTART
	v_dot2_f32_f16 v55, v4, v8, v55
	;;#ASMEND
	s_nop 0
	;;#ASMSTART
	v_dot2_f32_f16 v55, v5, v9, v55
	;;#ASMEND
	s_waitcnt lgkmcnt(2)
	;;#ASMSTART
	v_dot2_f32_f16 v56, v2, v10, v56
	;;#ASMEND
	s_nop 0
	;;#ASMSTART
	v_dot2_f32_f16 v56, v3, v11, v56
	;;#ASMEND
	s_nop 0
	;;#ASMSTART
	v_dot2_f32_f16 v56, v4, v12, v56
	;;#ASMEND
	s_nop 0
	;;#ASMSTART
	v_dot2_f32_f16 v56, v5, v13, v56
	;;#ASMEND
	;; [unrolled: 16-line block ×4, first 2 shown]
	ds_read_b128 v[2:5], v41 offset:48
	ds_read_b128 v[6:9], v34 offset:48
	;; [unrolled: 1-line block ×5, first 2 shown]
	s_waitcnt lgkmcnt(3)
	;;#ASMSTART
	v_dot2_f32_f16 v55, v2, v6, v55
	;;#ASMEND
	s_nop 0
	;;#ASMSTART
	v_dot2_f32_f16 v55, v3, v7, v55
	;;#ASMEND
	s_nop 0
	;;#ASMSTART
	v_dot2_f32_f16 v55, v4, v8, v55
	;;#ASMEND
	s_nop 0
	;;#ASMSTART
	v_dot2_f32_f16 v55, v5, v9, v55
	;;#ASMEND
	s_waitcnt lgkmcnt(2)
	;;#ASMSTART
	v_dot2_f32_f16 v56, v2, v10, v56
	;;#ASMEND
	s_nop 0
	;;#ASMSTART
	v_dot2_f32_f16 v56, v3, v11, v56
	;;#ASMEND
	s_nop 0
	;;#ASMSTART
	v_dot2_f32_f16 v56, v4, v12, v56
	;;#ASMEND
	s_nop 0
	;;#ASMSTART
	v_dot2_f32_f16 v56, v5, v13, v56
	;;#ASMEND
	;; [unrolled: 16-line block ×4, first 2 shown]
	ds_read_b128 v[2:5], v41 offset:64
	ds_read_b128 v[6:9], v34 offset:64
	;; [unrolled: 1-line block ×5, first 2 shown]
	s_waitcnt lgkmcnt(3)
	;;#ASMSTART
	v_dot2_f32_f16 v55, v2, v6, v55
	;;#ASMEND
	s_nop 0
	;;#ASMSTART
	v_dot2_f32_f16 v55, v3, v7, v55
	;;#ASMEND
	s_nop 0
	;;#ASMSTART
	v_dot2_f32_f16 v55, v4, v8, v55
	;;#ASMEND
	s_nop 0
	;;#ASMSTART
	v_dot2_f32_f16 v55, v5, v9, v55
	;;#ASMEND
	s_waitcnt lgkmcnt(2)
	;;#ASMSTART
	v_dot2_f32_f16 v56, v2, v10, v56
	;;#ASMEND
	s_nop 0
	;;#ASMSTART
	v_dot2_f32_f16 v56, v3, v11, v56
	;;#ASMEND
	s_nop 0
	;;#ASMSTART
	v_dot2_f32_f16 v56, v4, v12, v56
	;;#ASMEND
	s_nop 0
	;;#ASMSTART
	v_dot2_f32_f16 v56, v5, v13, v56
	;;#ASMEND
	;; [unrolled: 16-line block ×4, first 2 shown]
	ds_read_b128 v[2:5], v41 offset:80
	ds_read_b128 v[6:9], v34 offset:80
	;; [unrolled: 1-line block ×5, first 2 shown]
	s_waitcnt lgkmcnt(3)
	;;#ASMSTART
	v_dot2_f32_f16 v55, v2, v6, v55
	;;#ASMEND
	s_nop 0
	;;#ASMSTART
	v_dot2_f32_f16 v55, v3, v7, v55
	;;#ASMEND
	s_nop 0
	;;#ASMSTART
	v_dot2_f32_f16 v55, v4, v8, v55
	;;#ASMEND
	s_nop 0
	;;#ASMSTART
	v_dot2_f32_f16 v55, v5, v9, v55
	;;#ASMEND
	s_waitcnt lgkmcnt(2)
	;;#ASMSTART
	v_dot2_f32_f16 v56, v2, v10, v56
	;;#ASMEND
	s_nop 0
	;;#ASMSTART
	v_dot2_f32_f16 v56, v3, v11, v56
	;;#ASMEND
	s_nop 0
	;;#ASMSTART
	v_dot2_f32_f16 v56, v4, v12, v56
	;;#ASMEND
	s_nop 0
	;;#ASMSTART
	v_dot2_f32_f16 v56, v5, v13, v56
	;;#ASMEND
	;; [unrolled: 16-line block ×4, first 2 shown]
	ds_read_b128 v[2:5], v41 offset:96
	ds_read_b128 v[6:9], v34 offset:96
	;; [unrolled: 1-line block ×5, first 2 shown]
	s_waitcnt lgkmcnt(3)
	;;#ASMSTART
	v_dot2_f32_f16 v55, v2, v6, v55
	;;#ASMEND
	s_nop 0
	;;#ASMSTART
	v_dot2_f32_f16 v55, v3, v7, v55
	;;#ASMEND
	s_nop 0
	;;#ASMSTART
	v_dot2_f32_f16 v55, v4, v8, v55
	;;#ASMEND
	s_nop 0
	;;#ASMSTART
	v_dot2_f32_f16 v55, v5, v9, v55
	;;#ASMEND
	s_waitcnt lgkmcnt(2)
	;;#ASMSTART
	v_dot2_f32_f16 v56, v2, v10, v56
	;;#ASMEND
	s_nop 0
	;;#ASMSTART
	v_dot2_f32_f16 v56, v3, v11, v56
	;;#ASMEND
	s_nop 0
	;;#ASMSTART
	v_dot2_f32_f16 v56, v4, v12, v56
	;;#ASMEND
	s_nop 0
	;;#ASMSTART
	v_dot2_f32_f16 v56, v5, v13, v56
	;;#ASMEND
	;; [unrolled: 16-line block ×4, first 2 shown]
	ds_read_b128 v[2:5], v41 offset:112
	ds_read_b128 v[6:9], v34 offset:112
	;; [unrolled: 1-line block ×5, first 2 shown]
	s_waitcnt lgkmcnt(3)
	;;#ASMSTART
	v_dot2_f32_f16 v55, v2, v6, v55
	;;#ASMEND
	s_nop 0
	;;#ASMSTART
	v_dot2_f32_f16 v55, v3, v7, v55
	;;#ASMEND
	s_nop 0
	;;#ASMSTART
	v_dot2_f32_f16 v55, v4, v8, v55
	;;#ASMEND
	s_nop 0
	;;#ASMSTART
	v_dot2_f32_f16 v55, v5, v9, v55
	;;#ASMEND
	s_waitcnt lgkmcnt(2)
	;;#ASMSTART
	v_dot2_f32_f16 v56, v2, v10, v56
	;;#ASMEND
	s_nop 0
	;;#ASMSTART
	v_dot2_f32_f16 v56, v3, v11, v56
	;;#ASMEND
	s_nop 0
	;;#ASMSTART
	v_dot2_f32_f16 v56, v4, v12, v56
	;;#ASMEND
	s_nop 0
	;;#ASMSTART
	v_dot2_f32_f16 v56, v5, v13, v56
	;;#ASMEND
	;; [unrolled: 16-line block ×4, first 2 shown]
	s_barrier
	global_load_dwordx4 v[2:5], v[0:1], off offset:128
	s_waitcnt vmcnt(0)
	ds_write_b128 v40, v[2:5]
	s_waitcnt lgkmcnt(0)
	s_barrier
	ds_read_b128 v[2:5], v41
	ds_read_b128 v[6:9], v34 offset:128
	ds_read_b128 v[10:13], v34 offset:512
	;; [unrolled: 1-line block ×4, first 2 shown]
	s_waitcnt lgkmcnt(3)
	;;#ASMSTART
	v_dot2_f32_f16 v55, v2, v6, v55
	;;#ASMEND
	s_nop 0
	;;#ASMSTART
	v_dot2_f32_f16 v55, v3, v7, v55
	;;#ASMEND
	s_nop 0
	;;#ASMSTART
	v_dot2_f32_f16 v55, v4, v8, v55
	;;#ASMEND
	s_nop 0
	;;#ASMSTART
	v_dot2_f32_f16 v55, v5, v9, v55
	;;#ASMEND
	s_waitcnt lgkmcnt(2)
	;;#ASMSTART
	v_dot2_f32_f16 v56, v2, v10, v56
	;;#ASMEND
	s_nop 0
	;;#ASMSTART
	v_dot2_f32_f16 v56, v3, v11, v56
	;;#ASMEND
	s_nop 0
	;;#ASMSTART
	v_dot2_f32_f16 v56, v4, v12, v56
	;;#ASMEND
	s_nop 0
	;;#ASMSTART
	v_dot2_f32_f16 v56, v5, v13, v56
	;;#ASMEND
	;; [unrolled: 16-line block ×4, first 2 shown]
	ds_read_b128 v[2:5], v41 offset:16
	ds_read_b128 v[6:9], v34 offset:144
	;; [unrolled: 1-line block ×5, first 2 shown]
	s_waitcnt lgkmcnt(3)
	;;#ASMSTART
	v_dot2_f32_f16 v55, v2, v6, v55
	;;#ASMEND
	s_nop 0
	;;#ASMSTART
	v_dot2_f32_f16 v55, v3, v7, v55
	;;#ASMEND
	s_nop 0
	;;#ASMSTART
	v_dot2_f32_f16 v55, v4, v8, v55
	;;#ASMEND
	s_nop 0
	;;#ASMSTART
	v_dot2_f32_f16 v55, v5, v9, v55
	;;#ASMEND
	s_waitcnt lgkmcnt(2)
	;;#ASMSTART
	v_dot2_f32_f16 v56, v2, v10, v56
	;;#ASMEND
	s_nop 0
	;;#ASMSTART
	v_dot2_f32_f16 v56, v3, v11, v56
	;;#ASMEND
	s_nop 0
	;;#ASMSTART
	v_dot2_f32_f16 v56, v4, v12, v56
	;;#ASMEND
	s_nop 0
	;;#ASMSTART
	v_dot2_f32_f16 v56, v5, v13, v56
	;;#ASMEND
	;; [unrolled: 16-line block ×4, first 2 shown]
	ds_read_b128 v[2:5], v41 offset:32
	ds_read_b128 v[6:9], v34 offset:160
	;; [unrolled: 1-line block ×5, first 2 shown]
	s_waitcnt lgkmcnt(3)
	;;#ASMSTART
	v_dot2_f32_f16 v55, v2, v6, v55
	;;#ASMEND
	s_nop 0
	;;#ASMSTART
	v_dot2_f32_f16 v55, v3, v7, v55
	;;#ASMEND
	s_nop 0
	;;#ASMSTART
	v_dot2_f32_f16 v55, v4, v8, v55
	;;#ASMEND
	s_nop 0
	;;#ASMSTART
	v_dot2_f32_f16 v55, v5, v9, v55
	;;#ASMEND
	s_waitcnt lgkmcnt(2)
	;;#ASMSTART
	v_dot2_f32_f16 v56, v2, v10, v56
	;;#ASMEND
	s_nop 0
	;;#ASMSTART
	v_dot2_f32_f16 v56, v3, v11, v56
	;;#ASMEND
	s_nop 0
	;;#ASMSTART
	v_dot2_f32_f16 v56, v4, v12, v56
	;;#ASMEND
	s_nop 0
	;;#ASMSTART
	v_dot2_f32_f16 v56, v5, v13, v56
	;;#ASMEND
	s_waitcnt lgkmcnt(1)
	;;#ASMSTART
	v_dot2_f32_f16 v57, v2, v64, v57
	;;#ASMEND
	s_nop 0
	;;#ASMSTART
	v_dot2_f32_f16 v57, v3, v65, v57
	;;#ASMEND
	s_nop 0
	;;#ASMSTART
	v_dot2_f32_f16 v57, v4, v66, v57
	;;#ASMEND
	s_nop 0
	;;#ASMSTART
	v_dot2_f32_f16 v57, v5, v67, v57
	;;#ASMEND
	s_waitcnt lgkmcnt(0)
	;;#ASMSTART
	v_dot2_f32_f16 v58, v2, v68, v58
	;;#ASMEND
	s_nop 0
	;;#ASMSTART
	v_dot2_f32_f16 v58, v3, v69, v58
	;;#ASMEND
	s_nop 0
	;;#ASMSTART
	v_dot2_f32_f16 v58, v4, v70, v58
	;;#ASMEND
	s_nop 0
	;;#ASMSTART
	v_dot2_f32_f16 v58, v5, v71, v58
	;;#ASMEND
	ds_read_b128 v[2:5], v41 offset:48
	ds_read_b128 v[6:9], v34 offset:176
	;; [unrolled: 1-line block ×5, first 2 shown]
	s_waitcnt lgkmcnt(3)
	;;#ASMSTART
	v_dot2_f32_f16 v55, v2, v6, v55
	;;#ASMEND
	s_nop 0
	;;#ASMSTART
	v_dot2_f32_f16 v55, v3, v7, v55
	;;#ASMEND
	s_nop 0
	;;#ASMSTART
	v_dot2_f32_f16 v55, v4, v8, v55
	;;#ASMEND
	s_nop 0
	;;#ASMSTART
	v_dot2_f32_f16 v55, v5, v9, v55
	;;#ASMEND
	s_waitcnt lgkmcnt(2)
	;;#ASMSTART
	v_dot2_f32_f16 v56, v2, v10, v56
	;;#ASMEND
	s_nop 0
	;;#ASMSTART
	v_dot2_f32_f16 v56, v3, v11, v56
	;;#ASMEND
	s_nop 0
	;;#ASMSTART
	v_dot2_f32_f16 v56, v4, v12, v56
	;;#ASMEND
	s_nop 0
	;;#ASMSTART
	v_dot2_f32_f16 v56, v5, v13, v56
	;;#ASMEND
	;; [unrolled: 16-line block ×4, first 2 shown]
	ds_read_b128 v[2:5], v41 offset:64
	ds_read_b128 v[6:9], v34 offset:192
	;; [unrolled: 1-line block ×5, first 2 shown]
	s_waitcnt lgkmcnt(3)
	;;#ASMSTART
	v_dot2_f32_f16 v55, v2, v6, v55
	;;#ASMEND
	s_nop 0
	;;#ASMSTART
	v_dot2_f32_f16 v55, v3, v7, v55
	;;#ASMEND
	s_nop 0
	;;#ASMSTART
	v_dot2_f32_f16 v55, v4, v8, v55
	;;#ASMEND
	s_nop 0
	;;#ASMSTART
	v_dot2_f32_f16 v55, v5, v9, v55
	;;#ASMEND
	s_waitcnt lgkmcnt(2)
	;;#ASMSTART
	v_dot2_f32_f16 v56, v2, v10, v56
	;;#ASMEND
	s_nop 0
	;;#ASMSTART
	v_dot2_f32_f16 v56, v3, v11, v56
	;;#ASMEND
	s_nop 0
	;;#ASMSTART
	v_dot2_f32_f16 v56, v4, v12, v56
	;;#ASMEND
	s_nop 0
	;;#ASMSTART
	v_dot2_f32_f16 v56, v5, v13, v56
	;;#ASMEND
	;; [unrolled: 16-line block ×4, first 2 shown]
	ds_read_b128 v[2:5], v41 offset:80
	ds_read_b128 v[6:9], v34 offset:208
	ds_read_b128 v[10:13], v34 offset:592
	ds_read_b128 v[64:67], v34 offset:976
	ds_read_b128 v[68:71], v34 offset:1360
	s_waitcnt lgkmcnt(3)
	;;#ASMSTART
	v_dot2_f32_f16 v55, v2, v6, v55
	;;#ASMEND
	s_nop 0
	;;#ASMSTART
	v_dot2_f32_f16 v55, v3, v7, v55
	;;#ASMEND
	s_nop 0
	;;#ASMSTART
	v_dot2_f32_f16 v55, v4, v8, v55
	;;#ASMEND
	s_nop 0
	;;#ASMSTART
	v_dot2_f32_f16 v55, v5, v9, v55
	;;#ASMEND
	s_waitcnt lgkmcnt(2)
	;;#ASMSTART
	v_dot2_f32_f16 v56, v2, v10, v56
	;;#ASMEND
	s_nop 0
	;;#ASMSTART
	v_dot2_f32_f16 v56, v3, v11, v56
	;;#ASMEND
	s_nop 0
	;;#ASMSTART
	v_dot2_f32_f16 v56, v4, v12, v56
	;;#ASMEND
	s_nop 0
	;;#ASMSTART
	v_dot2_f32_f16 v56, v5, v13, v56
	;;#ASMEND
	;; [unrolled: 16-line block ×4, first 2 shown]
	ds_read_b128 v[2:5], v41 offset:96
	ds_read_b128 v[6:9], v34 offset:224
	;; [unrolled: 1-line block ×5, first 2 shown]
	s_waitcnt lgkmcnt(3)
	;;#ASMSTART
	v_dot2_f32_f16 v55, v2, v6, v55
	;;#ASMEND
	s_nop 0
	;;#ASMSTART
	v_dot2_f32_f16 v55, v3, v7, v55
	;;#ASMEND
	s_nop 0
	;; [unrolled: 4-line block ×3, first 2 shown]
	;;#ASMSTART
	v_dot2_f32_f16 v55, v5, v9, v55
	;;#ASMEND
	s_waitcnt lgkmcnt(2)
	;;#ASMSTART
	v_dot2_f32_f16 v56, v2, v10, v56
	;;#ASMEND
	s_nop 0
	;;#ASMSTART
	v_dot2_f32_f16 v56, v3, v11, v56
	;;#ASMEND
	s_nop 0
	;; [unrolled: 4-line block ×3, first 2 shown]
	;;#ASMSTART
	v_dot2_f32_f16 v56, v5, v13, v56
	;;#ASMEND
	s_waitcnt lgkmcnt(1)
	;;#ASMSTART
	v_dot2_f32_f16 v57, v2, v64, v57
	;;#ASMEND
	v_cndmask_b32_e64 v64, v25, v38, s[4:5]
	;;#ASMSTART
	v_dot2_f32_f16 v57, v3, v65, v57
	;;#ASMEND
	v_lshlrev_b32_e32 v64, 2, v64
	;;#ASMSTART
	v_dot2_f32_f16 v57, v4, v66, v57
	;;#ASMEND
	v_cmp_lt_i32_e64 s[4:5], v39, v28
	;;#ASMSTART
	v_dot2_f32_f16 v57, v5, v67, v57
	;;#ASMEND
	s_waitcnt lgkmcnt(0)
	;;#ASMSTART
	v_dot2_f32_f16 v58, v2, v68, v58
	;;#ASMEND
	s_nop 0
	;;#ASMSTART
	v_dot2_f32_f16 v58, v3, v69, v58
	;;#ASMEND
	s_nop 0
	;;#ASMSTART
	v_dot2_f32_f16 v58, v4, v70, v58
	;;#ASMEND
	v_cndmask_b32_e64 v65, v25, v39, s[4:5]
	;;#ASMSTART
	v_dot2_f32_f16 v58, v5, v71, v58
	;;#ASMEND
	ds_read_b128 v[2:5], v41 offset:112
	ds_read_b128 v[6:9], v34 offset:240
	;; [unrolled: 1-line block ×5, first 2 shown]
	s_waitcnt lgkmcnt(3)
	;;#ASMSTART
	v_dot2_f32_f16 v55, v2, v6, v55
	;;#ASMEND
	s_nop 0
	;;#ASMSTART
	v_dot2_f32_f16 v55, v3, v7, v55
	;;#ASMEND
	v_lshlrev_b32_e32 v65, 2, v65
	;;#ASMSTART
	v_dot2_f32_f16 v55, v4, v8, v55
	;;#ASMEND
	s_mul_hi_i32 s5, s2, s22
	;;#ASMSTART
	v_dot2_f32_f16 v55, v5, v9, v55
	;;#ASMEND
	s_waitcnt lgkmcnt(2)
	;;#ASMSTART
	v_dot2_f32_f16 v56, v2, v10, v56
	;;#ASMEND
	s_mul_i32 s4, s2, s22
	;;#ASMSTART
	v_dot2_f32_f16 v56, v3, v11, v56
	;;#ASMEND
	s_nop 0
	;;#ASMSTART
	v_dot2_f32_f16 v56, v4, v12, v56
	;;#ASMEND
	s_nop 0
	;;#ASMSTART
	v_dot2_f32_f16 v56, v5, v13, v56
	;;#ASMEND
	s_waitcnt lgkmcnt(1)
	;;#ASMSTART
	v_dot2_f32_f16 v57, v2, v66, v57
	;;#ASMEND
	s_nop 0
	;;#ASMSTART
	v_dot2_f32_f16 v57, v3, v67, v57
	;;#ASMEND
	s_nop 0
	;; [unrolled: 4-line block ×3, first 2 shown]
	;;#ASMSTART
	v_dot2_f32_f16 v57, v5, v69, v57
	;;#ASMEND
	s_waitcnt lgkmcnt(0)
	;;#ASMSTART
	v_dot2_f32_f16 v58, v2, v70, v58
	;;#ASMEND
	v_max_f32_e32 v70, v60, v60
	;;#ASMSTART
	v_dot2_f32_f16 v58, v3, v71, v58
	;;#ASMEND
	v_max_f32_e32 v71, v59, v59
	;;#ASMSTART
	v_dot2_f32_f16 v58, v4, v72, v58
	;;#ASMEND
	s_nop 0
	;;#ASMSTART
	v_dot2_f32_f16 v58, v5, v73, v58
	;;#ASMEND
	s_barrier
	global_load_dwordx4 v[0:3], v[0:1], off offset:256
	s_waitcnt vmcnt(0)
	ds_write_b128 v40, v[0:3]
	s_waitcnt lgkmcnt(0)
	s_barrier
	ds_read_b128 v[0:3], v41
	ds_read_b128 v[4:7], v34 offset:256
	ds_read_b128 v[8:11], v34 offset:640
	;; [unrolled: 1-line block ×4, first 2 shown]
	s_waitcnt lgkmcnt(3)
	;;#ASMSTART
	v_dot2_f32_f16 v55, v0, v4, v55
	;;#ASMEND
	s_nop 0
	;;#ASMSTART
	v_dot2_f32_f16 v55, v1, v5, v55
	;;#ASMEND
	s_nop 0
	;;#ASMSTART
	v_dot2_f32_f16 v55, v2, v6, v55
	;;#ASMEND
	s_nop 0
	;;#ASMSTART
	v_dot2_f32_f16 v55, v3, v7, v55
	;;#ASMEND
	s_waitcnt lgkmcnt(2)
	;;#ASMSTART
	v_dot2_f32_f16 v56, v0, v8, v56
	;;#ASMEND
	s_nop 0
	;;#ASMSTART
	v_dot2_f32_f16 v56, v1, v9, v56
	;;#ASMEND
	s_nop 0
	;;#ASMSTART
	v_dot2_f32_f16 v56, v2, v10, v56
	;;#ASMEND
	s_nop 0
	;;#ASMSTART
	v_dot2_f32_f16 v56, v3, v11, v56
	;;#ASMEND
	;; [unrolled: 16-line block ×4, first 2 shown]
	ds_read_b128 v[0:3], v41 offset:16
	ds_read_b128 v[4:7], v34 offset:272
	;; [unrolled: 1-line block ×5, first 2 shown]
	s_waitcnt lgkmcnt(3)
	;;#ASMSTART
	v_dot2_f32_f16 v55, v0, v4, v55
	;;#ASMEND
	s_nop 0
	;;#ASMSTART
	v_dot2_f32_f16 v55, v1, v5, v55
	;;#ASMEND
	s_nop 0
	;;#ASMSTART
	v_dot2_f32_f16 v55, v2, v6, v55
	;;#ASMEND
	s_nop 0
	;;#ASMSTART
	v_dot2_f32_f16 v55, v3, v7, v55
	;;#ASMEND
	s_waitcnt lgkmcnt(2)
	;;#ASMSTART
	v_dot2_f32_f16 v56, v0, v8, v56
	;;#ASMEND
	s_nop 0
	;;#ASMSTART
	v_dot2_f32_f16 v56, v1, v9, v56
	;;#ASMEND
	s_nop 0
	;;#ASMSTART
	v_dot2_f32_f16 v56, v2, v10, v56
	;;#ASMEND
	s_nop 0
	;;#ASMSTART
	v_dot2_f32_f16 v56, v3, v11, v56
	;;#ASMEND
	s_waitcnt lgkmcnt(1)
	;;#ASMSTART
	v_dot2_f32_f16 v57, v0, v12, v57
	;;#ASMEND
	s_nop 0
	;;#ASMSTART
	v_dot2_f32_f16 v57, v1, v13, v57
	;;#ASMEND
	s_nop 0
	;;#ASMSTART
	v_dot2_f32_f16 v57, v2, v14, v57
	;;#ASMEND
	s_nop 0
	;;#ASMSTART
	v_dot2_f32_f16 v57, v3, v15, v57
	;;#ASMEND
	s_waitcnt lgkmcnt(0)
	;;#ASMSTART
	v_dot2_f32_f16 v58, v0, v66, v58
	;;#ASMEND
	s_nop 0
	;;#ASMSTART
	v_dot2_f32_f16 v58, v1, v67, v58
	;;#ASMEND
	s_nop 0
	;;#ASMSTART
	v_dot2_f32_f16 v58, v2, v68, v58
	;;#ASMEND
	s_nop 0
	;;#ASMSTART
	v_dot2_f32_f16 v58, v3, v69, v58
	;;#ASMEND
	ds_read_b128 v[0:3], v41 offset:32
	ds_read_b128 v[4:7], v34 offset:288
	;; [unrolled: 1-line block ×5, first 2 shown]
	s_waitcnt lgkmcnt(3)
	;;#ASMSTART
	v_dot2_f32_f16 v55, v0, v4, v55
	;;#ASMEND
	s_nop 0
	;;#ASMSTART
	v_dot2_f32_f16 v55, v1, v5, v55
	;;#ASMEND
	s_nop 0
	;;#ASMSTART
	v_dot2_f32_f16 v55, v2, v6, v55
	;;#ASMEND
	s_nop 0
	;;#ASMSTART
	v_dot2_f32_f16 v55, v3, v7, v55
	;;#ASMEND
	s_waitcnt lgkmcnt(2)
	;;#ASMSTART
	v_dot2_f32_f16 v56, v0, v8, v56
	;;#ASMEND
	s_nop 0
	;;#ASMSTART
	v_dot2_f32_f16 v56, v1, v9, v56
	;;#ASMEND
	s_nop 0
	;;#ASMSTART
	v_dot2_f32_f16 v56, v2, v10, v56
	;;#ASMEND
	s_nop 0
	;;#ASMSTART
	v_dot2_f32_f16 v56, v3, v11, v56
	;;#ASMEND
	;; [unrolled: 16-line block ×4, first 2 shown]
	ds_read_b128 v[0:3], v41 offset:48
	ds_read_b128 v[4:7], v34 offset:304
	;; [unrolled: 1-line block ×5, first 2 shown]
	s_waitcnt lgkmcnt(3)
	;;#ASMSTART
	v_dot2_f32_f16 v55, v0, v4, v55
	;;#ASMEND
	s_nop 0
	;;#ASMSTART
	v_dot2_f32_f16 v55, v1, v5, v55
	;;#ASMEND
	s_nop 0
	;;#ASMSTART
	v_dot2_f32_f16 v55, v2, v6, v55
	;;#ASMEND
	s_nop 0
	;;#ASMSTART
	v_dot2_f32_f16 v55, v3, v7, v55
	;;#ASMEND
	s_waitcnt lgkmcnt(2)
	;;#ASMSTART
	v_dot2_f32_f16 v56, v0, v8, v56
	;;#ASMEND
	s_nop 0
	;;#ASMSTART
	v_dot2_f32_f16 v56, v1, v9, v56
	;;#ASMEND
	s_nop 0
	;;#ASMSTART
	v_dot2_f32_f16 v56, v2, v10, v56
	;;#ASMEND
	s_nop 0
	;;#ASMSTART
	v_dot2_f32_f16 v56, v3, v11, v56
	;;#ASMEND
	;; [unrolled: 16-line block ×4, first 2 shown]
	ds_read_b128 v[0:3], v41 offset:64
	ds_read_b128 v[4:7], v34 offset:320
	;; [unrolled: 1-line block ×5, first 2 shown]
	s_waitcnt lgkmcnt(3)
	;;#ASMSTART
	v_dot2_f32_f16 v55, v0, v4, v55
	;;#ASMEND
	s_nop 0
	;;#ASMSTART
	v_dot2_f32_f16 v55, v1, v5, v55
	;;#ASMEND
	s_nop 0
	;;#ASMSTART
	v_dot2_f32_f16 v55, v2, v6, v55
	;;#ASMEND
	s_nop 0
	;;#ASMSTART
	v_dot2_f32_f16 v55, v3, v7, v55
	;;#ASMEND
	s_waitcnt lgkmcnt(2)
	;;#ASMSTART
	v_dot2_f32_f16 v56, v0, v8, v56
	;;#ASMEND
	s_nop 0
	;;#ASMSTART
	v_dot2_f32_f16 v56, v1, v9, v56
	;;#ASMEND
	s_nop 0
	;;#ASMSTART
	v_dot2_f32_f16 v56, v2, v10, v56
	;;#ASMEND
	s_nop 0
	;;#ASMSTART
	v_dot2_f32_f16 v56, v3, v11, v56
	;;#ASMEND
	;; [unrolled: 16-line block ×4, first 2 shown]
	ds_read_b128 v[0:3], v41 offset:80
	ds_read_b128 v[4:7], v34 offset:336
	;; [unrolled: 1-line block ×5, first 2 shown]
	s_waitcnt lgkmcnt(3)
	;;#ASMSTART
	v_dot2_f32_f16 v55, v0, v4, v55
	;;#ASMEND
	s_nop 0
	;;#ASMSTART
	v_dot2_f32_f16 v55, v1, v5, v55
	;;#ASMEND
	s_nop 0
	;;#ASMSTART
	v_dot2_f32_f16 v55, v2, v6, v55
	;;#ASMEND
	s_nop 0
	;;#ASMSTART
	v_dot2_f32_f16 v55, v3, v7, v55
	;;#ASMEND
	s_waitcnt lgkmcnt(2)
	;;#ASMSTART
	v_dot2_f32_f16 v56, v0, v8, v56
	;;#ASMEND
	s_nop 0
	;;#ASMSTART
	v_dot2_f32_f16 v56, v1, v9, v56
	;;#ASMEND
	s_nop 0
	;;#ASMSTART
	v_dot2_f32_f16 v56, v2, v10, v56
	;;#ASMEND
	s_nop 0
	;;#ASMSTART
	v_dot2_f32_f16 v56, v3, v11, v56
	;;#ASMEND
	;; [unrolled: 16-line block ×4, first 2 shown]
	ds_read_b128 v[0:3], v41 offset:96
	ds_read_b128 v[4:7], v34 offset:352
	;; [unrolled: 1-line block ×5, first 2 shown]
	s_waitcnt lgkmcnt(3)
	;;#ASMSTART
	v_dot2_f32_f16 v55, v0, v4, v55
	;;#ASMEND
	s_nop 0
	;;#ASMSTART
	v_dot2_f32_f16 v55, v1, v5, v55
	;;#ASMEND
	s_nop 0
	;;#ASMSTART
	v_dot2_f32_f16 v55, v2, v6, v55
	;;#ASMEND
	s_nop 0
	;;#ASMSTART
	v_dot2_f32_f16 v55, v3, v7, v55
	;;#ASMEND
	s_waitcnt lgkmcnt(2)
	;;#ASMSTART
	v_dot2_f32_f16 v56, v0, v8, v56
	;;#ASMEND
	s_nop 0
	;;#ASMSTART
	v_dot2_f32_f16 v56, v1, v9, v56
	;;#ASMEND
	s_nop 0
	;;#ASMSTART
	v_dot2_f32_f16 v56, v2, v10, v56
	;;#ASMEND
	s_nop 0
	;;#ASMSTART
	v_dot2_f32_f16 v56, v3, v11, v56
	;;#ASMEND
	;; [unrolled: 16-line block ×4, first 2 shown]
	ds_read_b128 v[0:3], v41 offset:112
	ds_read_b128 v[66:69], v34 offset:368
	;; [unrolled: 1-line block ×5, first 2 shown]
	s_waitcnt lgkmcnt(3)
	;;#ASMSTART
	v_dot2_f32_f16 v55, v0, v66, v55
	;;#ASMEND
	s_nop 0
	;;#ASMSTART
	v_dot2_f32_f16 v55, v1, v67, v55
	;;#ASMEND
	v_cndmask_b32_e32 v66, v25, v36, vcc
	;;#ASMSTART
	v_dot2_f32_f16 v55, v2, v68, v55
	;;#ASMEND
	v_max_f32_e32 v68, v62, v62
	;;#ASMSTART
	v_dot2_f32_f16 v55, v3, v69, v55
	;;#ASMEND
	s_waitcnt lgkmcnt(2)
	;;#ASMSTART
	v_dot2_f32_f16 v56, v0, v12, v56
	;;#ASMEND
	v_max_f32_e32 v69, v61, v61
	;;#ASMSTART
	v_dot2_f32_f16 v56, v1, v13, v56
	;;#ASMEND
	v_lshlrev_b32_e32 v66, 2, v66
	;;#ASMSTART
	v_dot2_f32_f16 v56, v2, v14, v56
	;;#ASMEND
	v_cmp_lt_i32_e32 vcc, v35, v28
	;;#ASMSTART
	v_dot2_f32_f16 v56, v3, v15, v56
	;;#ASMEND
	s_waitcnt lgkmcnt(1)
	;;#ASMSTART
	v_dot2_f32_f16 v57, v0, v8, v57
	;;#ASMEND
	v_lshl_add_u64 v[14:15], v[30:31], 1, s[36:37]
	;;#ASMSTART
	v_dot2_f32_f16 v57, v1, v9, v57
	;;#ASMEND
	v_lshl_add_u64 v[12:13], s[4:5], 2, v[26:27]
	;;#ASMSTART
	v_dot2_f32_f16 v57, v2, v10, v57
	;;#ASMEND
	v_cndmask_b32_e32 v67, v25, v35, vcc
	;;#ASMSTART
	v_dot2_f32_f16 v57, v3, v11, v57
	;;#ASMEND
	s_waitcnt lgkmcnt(0)
	;;#ASMSTART
	v_dot2_f32_f16 v58, v0, v4, v58
	;;#ASMEND
	v_lshlrev_b32_e32 v67, 2, v67
	;;#ASMSTART
	v_dot2_f32_f16 v58, v1, v5, v58
	;;#ASMEND
	s_mul_hi_i32 s5, s6, s22
	;;#ASMSTART
	v_dot2_f32_f16 v58, v2, v6, v58
	;;#ASMEND
	s_mul_i32 s4, s6, s22
	;;#ASMSTART
	v_dot2_f32_f16 v58, v3, v7, v58
	;;#ASMEND
	global_load_ushort v0, v[14:15], off
	s_barrier
	v_lshl_add_u64 v[8:9], s[4:5], 2, v[26:27]
	s_waitcnt vmcnt(0)
	v_cvt_f32_f16_e32 v0, v0
	v_add_f32_e32 v4, v55, v0
	v_add_f32_e32 v5, v56, v0
	v_add_f32_e32 v6, v57, v0
	v_add_f32_e32 v7, v58, v0
	v_add_f32_e32 v0, 0x40051340, v4
	v_max_f32_e32 v0, v68, v0
	v_add_f32_e32 v1, 0x40051340, v5
	ds_bpermute_b32 v10, v63, v0
	v_add_f32_e32 v2, 0x40051340, v6
	v_add_f32_e32 v3, 0x40051340, v7
	v_max_f32_e32 v1, v69, v1
	v_max_f32_e32 v2, v70, v2
	v_max_f32_e32 v3, v71, v3
	ds_bpermute_b32 v11, v63, v1
	ds_bpermute_b32 v14, v63, v2
	ds_bpermute_b32 v15, v63, v3
	s_waitcnt lgkmcnt(3)
	v_max_f32_e32 v10, v10, v10
	v_max_f32_e32 v0, v0, v10
	s_waitcnt lgkmcnt(2)
	v_max_f32_e32 v11, v11, v11
	ds_bpermute_b32 v10, v64, v0
	s_waitcnt lgkmcnt(2)
	v_max_f32_e32 v14, v14, v14
	s_waitcnt lgkmcnt(1)
	v_max_f32_e32 v15, v15, v15
	v_max_f32_e32 v1, v1, v11
	v_max_f32_e32 v2, v2, v14
	v_max_f32_e32 v3, v3, v15
	ds_bpermute_b32 v11, v64, v1
	ds_bpermute_b32 v14, v64, v2
	ds_bpermute_b32 v15, v64, v3
	s_waitcnt lgkmcnt(3)
	v_max_f32_e32 v10, v10, v10
	v_max_f32_e32 v0, v0, v10
	s_waitcnt lgkmcnt(2)
	v_max_f32_e32 v11, v11, v11
	ds_bpermute_b32 v10, v65, v0
	s_waitcnt lgkmcnt(2)
	v_max_f32_e32 v14, v14, v14
	s_waitcnt lgkmcnt(1)
	v_max_f32_e32 v15, v15, v15
	;; [unrolled: 16-line block ×4, first 2 shown]
	v_max_f32_e32 v1, v1, v11
	v_max_f32_e32 v2, v2, v14
	;; [unrolled: 1-line block ×3, first 2 shown]
	ds_bpermute_b32 v11, v67, v1
	ds_bpermute_b32 v14, v67, v2
	;; [unrolled: 1-line block ×3, first 2 shown]
	s_waitcnt lgkmcnt(3)
	v_max_f32_e32 v10, v10, v10
	v_max_f32_e32 v0, v0, v10
	s_waitcnt lgkmcnt(2)
	v_max_f32_e32 v11, v11, v11
	v_sub_f32_e32 v10, v62, v0
	s_waitcnt lgkmcnt(1)
	v_max_f32_e32 v14, v14, v14
	s_waitcnt lgkmcnt(0)
	v_max_f32_e32 v15, v15, v15
	v_max_f32_e32 v1, v1, v11
	v_sub_f32_e32 v11, v4, v0
	v_mul_f32_e32 v4, 0x3fb8aa3b, v10
	v_max_f32_e32 v2, v2, v14
	v_max_f32_e32 v3, v3, v15
	v_sub_f32_e32 v14, v61, v1
	v_sub_f32_e32 v15, v5, v1
	v_mul_f32_e32 v5, 0x3fb8aa3b, v11
	v_fma_f32 v61, v10, s28, -v4
	v_rndne_f32_e32 v69, v4
	v_fma_f32 v62, v11, s28, -v5
	v_fmac_f32_e32 v61, 0x32a5705f, v10
	v_sub_f32_e32 v4, v4, v69
	v_rndne_f32_e32 v70, v5
	v_sub_f32_e32 v31, v6, v2
	v_mul_f32_e32 v6, 0x3fb8aa3b, v14
	v_add_f32_e32 v61, v4, v61
	v_fmac_f32_e32 v62, 0x32a5705f, v11
	v_sub_f32_e32 v4, v5, v70
	v_fma_f32 v63, v14, s28, -v6
	v_add_f32_e32 v62, v4, v62
	v_rndne_f32_e32 v4, v6
	v_sub_f32_e32 v30, v60, v2
	v_sub_f32_e32 v56, v7, v3
	v_mul_f32_e32 v7, 0x3fb8aa3b, v15
	v_fmac_f32_e32 v63, 0x32a5705f, v14
	v_sub_f32_e32 v5, v6, v4
	v_mul_f32_e32 v57, 0x3fb8aa3b, v30
	v_fma_f32 v64, v15, s28, -v7
	v_add_f32_e32 v5, v5, v63
	v_rndne_f32_e32 v63, v7
	v_fma_f32 v65, v30, s28, -v57
	v_fmac_f32_e32 v64, 0x32a5705f, v15
	v_sub_f32_e32 v6, v7, v63
	v_rndne_f32_e32 v71, v57
	v_mul_f32_e32 v58, 0x3fb8aa3b, v31
	v_add_f32_e32 v64, v6, v64
	v_fmac_f32_e32 v65, 0x32a5705f, v30
	v_sub_f32_e32 v6, v57, v71
	v_sub_f32_e32 v55, v59, v3
	v_fma_f32 v66, v31, s28, -v58
	v_add_f32_e32 v57, v6, v65
	v_rndne_f32_e32 v65, v58
	v_mul_f32_e32 v59, 0x3fb8aa3b, v55
	v_fmac_f32_e32 v66, 0x32a5705f, v31
	v_sub_f32_e32 v6, v58, v65
	v_fma_f32 v67, v55, s28, -v59
	v_add_f32_e32 v58, v6, v66
	v_rndne_f32_e32 v66, v59
	v_cvt_i32_f32_e32 v4, v4
	v_exp_f32_e32 v5, v5
	v_mul_f32_e32 v60, 0x3fb8aa3b, v56
	v_fmac_f32_e32 v67, 0x32a5705f, v55
	v_sub_f32_e32 v6, v59, v66
	v_fma_f32 v68, v56, s28, -v60
	v_add_f32_e32 v59, v6, v67
	v_rndne_f32_e32 v67, v60
	v_fmac_f32_e32 v68, 0x32a5705f, v56
	v_sub_f32_e32 v6, v60, v67
	v_add_f32_e32 v60, v6, v68
	v_ldexp_f32 v68, v5, v4
	global_load_dwordx4 v[4:7], v[12:13], off
	v_cvt_i32_f32_e32 v12, v69
	v_cvt_i32_f32_e32 v13, v70
	;; [unrolled: 1-line block ×7, first 2 shown]
	v_exp_f32_e32 v61, v61
	v_exp_f32_e32 v62, v62
	;; [unrolled: 1-line block ×7, first 2 shown]
	v_cmp_ngt_f32_e32 vcc, s29, v14
	v_ldexp_f32 v63, v64, v63
	v_cmp_ngt_f32_e64 s[4:5], s29, v15
	v_ldexp_f32 v57, v57, v69
	v_cmp_ngt_f32_e64 s[6:7], s29, v30
	;; [unrolled: 2-line block ×7, first 2 shown]
	v_cndmask_b32_e64 v12, 0, v12, s[8:9]
	v_cmp_nlt_f32_e64 s[8:9], s38, v10
	v_cndmask_b32_e64 v13, 0, v13, s[16:17]
	v_cmp_nlt_f32_e64 s[16:17], s38, v11
	v_cndmask_b32_e32 v11, 0, v68, vcc
	v_cmp_nlt_f32_e32 vcc, s38, v14
	v_cndmask_b32_e64 v14, 0, v63, s[4:5]
	v_cmp_nlt_f32_e64 s[4:5], s38, v15
	v_cndmask_b32_e64 v15, 0, v57, s[6:7]
	v_cmp_nlt_f32_e64 s[6:7], s38, v30
	;; [unrolled: 2-line block ×5, first 2 shown]
	v_cndmask_b32_e64 v10, v44, v12, s[8:9]
	v_cndmask_b32_e64 v12, v44, v13, s[16:17]
	;; [unrolled: 1-line block ×7, first 2 shown]
	v_cndmask_b32_e32 v11, v44, v11, vcc
	v_cvt_f16_f32_e32 v55, v10
	v_cvt_f16_f32_e32 v61, v14
	v_pk_fma_f32 v[18:19], v[18:19], v[14:15], v[30:31]
	v_cvt_f16_f32_e32 v14, v15
	v_cvt_f16_f32_e32 v60, v11
	v_pk_fma_f32 v[20:21], v[20:21], v[10:11], v[12:13]
	v_cvt_pk_f16_f32 v11, v30, v31
	v_cvt_pk_f16_f32 v10, v12, v13
	ds_write_b64 v45, v[10:11]
	s_waitcnt vmcnt(0)
	ds_write_b128 v43, v[4:7]
	s_waitcnt lgkmcnt(0)
	s_barrier
	ds_read_b128 v[4:7], v42
	ds_read2_b64 v[10:13], v46 offset1:32
	ds_read_b128 v[56:59], v42 offset:16
	v_mul_u32_u24_e32 v14, 0x10001, v14
	v_mul_u32_u24_e32 v55, 0x10001, v55
	v_pk_mul_f16 v15, v29, v14
	s_waitcnt lgkmcnt(2)
	v_mul_u32_u24_sdwa v29, v4, s39 dst_sel:DWORD dst_unused:UNUSED_PAD src0_sel:WORD_0 src1_sel:DWORD
	v_mul_u32_u24_sdwa v62, v5, s39 dst_sel:DWORD dst_unused:UNUSED_PAD src0_sel:WORD_1 src1_sel:DWORD
	v_pk_mul_f16 v14, v48, v14
	v_pk_mul_f16 v48, v54, v55
	s_waitcnt lgkmcnt(1)
	v_pk_fma_f16 v14, v10, v62, v14
	v_pk_fma_f16 v15, v11, v62, v15
	v_pk_fma_f16 v62, v11, v29, v48
	v_pk_mul_f16 v29, v10, v29
	s_waitcnt lgkmcnt(0)
	v_mul_u32_u24_sdwa v67, v56, s39 dst_sel:DWORD dst_unused:UNUSED_PAD src0_sel:WORD_0 src1_sel:DWORD
	v_mul_u32_u24_sdwa v68, v56, s39 dst_sel:DWORD dst_unused:UNUSED_PAD src0_sel:WORD_1 src1_sel:DWORD
	v_mul_u32_u24_sdwa v69, v57, s39 dst_sel:DWORD dst_unused:UNUSED_PAD src0_sel:WORD_0 src1_sel:DWORD
	v_mul_u32_u24_sdwa v70, v57, s39 dst_sel:DWORD dst_unused:UNUSED_PAD src0_sel:WORD_1 src1_sel:DWORD
	v_pk_fma_f16 v29, v53, v55, v29
	ds_read_b128 v[54:57], v42 offset:32
	v_mul_u32_u24_e32 v48, 0x10001, v60
	v_mul_u32_u24_sdwa v30, v4, s39 dst_sel:DWORD dst_unused:UNUSED_PAD src0_sel:WORD_1 src1_sel:DWORD
	v_mul_u32_u24_sdwa v31, v5, s39 dst_sel:DWORD dst_unused:UNUSED_PAD src0_sel:WORD_0 src1_sel:DWORD
	v_mul_u32_u24_e32 v53, 0x10001, v61
	v_pk_mul_f16 v52, v52, v48
	v_mul_u32_u24_sdwa v63, v6, s39 dst_sel:DWORD dst_unused:UNUSED_PAD src0_sel:WORD_0 src1_sel:DWORD
	v_mul_u32_u24_sdwa v64, v6, s39 dst_sel:DWORD dst_unused:UNUSED_PAD src0_sel:WORD_1 src1_sel:DWORD
	v_mul_u32_u24_sdwa v65, v7, s39 dst_sel:DWORD dst_unused:UNUSED_PAD src0_sel:WORD_0 src1_sel:DWORD
	v_mul_u32_u24_sdwa v66, v7, s39 dst_sel:DWORD dst_unused:UNUSED_PAD src0_sel:WORD_1 src1_sel:DWORD
	ds_read2_b64 v[4:7], v46 offset0:64 offset1:96
	v_pk_mul_f16 v50, v50, v53
	v_pk_fma_f16 v52, v11, v30, v52
	v_pk_mul_f16 v30, v10, v30
	v_pk_mul_f16 v10, v10, v31
	v_pk_fma_f16 v11, v11, v31, v50
	v_pk_fma_f16 v30, v51, v48, v30
	;; [unrolled: 1-line block ×3, first 2 shown]
	ds_read_b128 v[48:51], v42 offset:48
	v_pk_fma_f16 v14, v12, v66, v14
	v_pk_fma_f16 v15, v13, v66, v15
	s_waitcnt lgkmcnt(2)
	v_mul_u32_u24_sdwa v31, v54, s39 dst_sel:DWORD dst_unused:UNUSED_PAD src0_sel:WORD_0 src1_sel:DWORD
	v_pk_fma_f16 v53, v13, v63, v62
	v_pk_fma_f16 v29, v12, v63, v29
	v_mul_u32_u24_sdwa v60, v54, s39 dst_sel:DWORD dst_unused:UNUSED_PAD src0_sel:WORD_1 src1_sel:DWORD
	v_pk_fma_f16 v52, v13, v64, v52
	v_pk_fma_f16 v30, v12, v64, v30
	;; [unrolled: 1-line block ×4, first 2 shown]
	ds_read2_b64 v[10:13], v46 offset0:128 offset1:160
	v_mul_u32_u24_sdwa v71, v58, s39 dst_sel:DWORD dst_unused:UNUSED_PAD src0_sel:WORD_0 src1_sel:DWORD
	v_mul_u32_u24_sdwa v58, v58, s39 dst_sel:DWORD dst_unused:UNUSED_PAD src0_sel:WORD_1 src1_sel:DWORD
	v_mul_u32_u24_sdwa v72, v59, s39 dst_sel:DWORD dst_unused:UNUSED_PAD src0_sel:WORD_0 src1_sel:DWORD
	v_mul_u32_u24_sdwa v59, v59, s39 dst_sel:DWORD dst_unused:UNUSED_PAD src0_sel:WORD_1 src1_sel:DWORD
	s_waitcnt lgkmcnt(2)
	v_pk_fma_f16 v14, v4, v70, v14
	v_pk_fma_f16 v15, v5, v70, v15
	;; [unrolled: 1-line block ×8, first 2 shown]
	v_mul_u32_u24_sdwa v61, v55, s39 dst_sel:DWORD dst_unused:UNUSED_PAD src0_sel:WORD_0 src1_sel:DWORD
	v_mul_u32_u24_sdwa v63, v55, s39 dst_sel:DWORD dst_unused:UNUSED_PAD src0_sel:WORD_1 src1_sel:DWORD
	ds_read2_b64 v[52:55], v46 offset0:192 offset1:224
	v_pk_fma_f16 v14, v6, v59, v14
	v_pk_fma_f16 v15, v7, v59, v15
	s_waitcnt lgkmcnt(2)
	v_mul_u32_u24_sdwa v59, v48, s39 dst_sel:DWORD dst_unused:UNUSED_PAD src0_sel:WORD_0 src1_sel:DWORD
	v_pk_fma_f16 v62, v7, v71, v66
	v_pk_fma_f16 v29, v6, v71, v29
	v_mul_u32_u24_sdwa v66, v48, s39 dst_sel:DWORD dst_unused:UNUSED_PAD src0_sel:WORD_1 src1_sel:DWORD
	v_pk_fma_f16 v48, v7, v58, v70
	v_pk_fma_f16 v30, v6, v58, v30
	;; [unrolled: 1-line block ×4, first 2 shown]
	ds_read_b128 v[4:7], v42 offset:64
	v_mul_u32_u24_sdwa v58, v49, s39 dst_sel:DWORD dst_unused:UNUSED_PAD src0_sel:WORD_0 src1_sel:DWORD
	v_mul_u32_u24_sdwa v69, v49, s39 dst_sel:DWORD dst_unused:UNUSED_PAD src0_sel:WORD_1 src1_sel:DWORD
	v_mul_u32_u24_sdwa v70, v50, s39 dst_sel:DWORD dst_unused:UNUSED_PAD src0_sel:WORD_0 src1_sel:DWORD
	v_mul_u32_u24_sdwa v71, v50, s39 dst_sel:DWORD dst_unused:UNUSED_PAD src0_sel:WORD_1 src1_sel:DWORD
	;; [unrolled: 2-line block ×3, first 2 shown]
	s_waitcnt lgkmcnt(2)
	v_pk_fma_f16 v14, v10, v63, v14
	v_pk_fma_f16 v15, v11, v63, v15
	;; [unrolled: 1-line block ×3, first 2 shown]
	ds_read_b128 v[48:51], v42 offset:80
	v_mul_u32_u24_sdwa v64, v56, s39 dst_sel:DWORD dst_unused:UNUSED_PAD src0_sel:WORD_0 src1_sel:DWORD
	v_mul_u32_u24_sdwa v56, v56, s39 dst_sel:DWORD dst_unused:UNUSED_PAD src0_sel:WORD_1 src1_sel:DWORD
	v_mul_u32_u24_sdwa v65, v57, s39 dst_sel:DWORD dst_unused:UNUSED_PAD src0_sel:WORD_0 src1_sel:DWORD
	v_mul_u32_u24_sdwa v57, v57, s39 dst_sel:DWORD dst_unused:UNUSED_PAD src0_sel:WORD_1 src1_sel:DWORD
	v_pk_fma_f16 v62, v11, v31, v62
	v_pk_fma_f16 v11, v11, v61, v67
	;; [unrolled: 1-line block ×13, first 2 shown]
	s_waitcnt lgkmcnt(1)
	v_mul_u32_u24_sdwa v31, v4, s39 dst_sel:DWORD dst_unused:UNUSED_PAD src0_sel:WORD_0 src1_sel:DWORD
	v_mul_u32_u24_sdwa v60, v4, s39 dst_sel:DWORD dst_unused:UNUSED_PAD src0_sel:WORD_1 src1_sel:DWORD
	v_mul_u32_u24_sdwa v56, v5, s39 dst_sel:DWORD dst_unused:UNUSED_PAD src0_sel:WORD_0 src1_sel:DWORD
	v_mul_u32_u24_sdwa v62, v5, s39 dst_sel:DWORD dst_unused:UNUSED_PAD src0_sel:WORD_1 src1_sel:DWORD
	;; [unrolled: 2-line block ×4, first 2 shown]
	ds_read2_b64 v[4:7], v47 offset1:32
	v_pk_fma_f16 v14, v52, v69, v14
	v_pk_fma_f16 v15, v53, v69, v15
	;; [unrolled: 1-line block ×8, first 2 shown]
	s_waitcnt lgkmcnt(1)
	v_mul_u32_u24_sdwa v58, v48, s39 dst_sel:DWORD dst_unused:UNUSED_PAD src0_sel:WORD_0 src1_sel:DWORD
	v_pk_fma_f16 v57, v55, v70, v57
	v_pk_fma_f16 v29, v54, v70, v29
	v_mul_u32_u24_sdwa v59, v48, s39 dst_sel:DWORD dst_unused:UNUSED_PAD src0_sel:WORD_1 src1_sel:DWORD
	v_pk_fma_f16 v61, v55, v71, v61
	v_pk_fma_f16 v30, v54, v71, v30
	v_mul_u32_u24_sdwa v66, v49, s39 dst_sel:DWORD dst_unused:UNUSED_PAD src0_sel:WORD_0 src1_sel:DWORD
	v_pk_fma_f16 v53, v55, v72, v53
	v_pk_fma_f16 v52, v54, v72, v52
	v_mul_u32_u24_sdwa v68, v49, s39 dst_sel:DWORD dst_unused:UNUSED_PAD src0_sel:WORD_1 src1_sel:DWORD
	v_mul_u32_u24_sdwa v69, v50, s39 dst_sel:DWORD dst_unused:UNUSED_PAD src0_sel:WORD_0 src1_sel:DWORD
	v_mul_u32_u24_sdwa v70, v50, s39 dst_sel:DWORD dst_unused:UNUSED_PAD src0_sel:WORD_1 src1_sel:DWORD
	v_mul_u32_u24_sdwa v71, v51, s39 dst_sel:DWORD dst_unused:UNUSED_PAD src0_sel:WORD_0 src1_sel:DWORD
	v_mul_u32_u24_sdwa v72, v51, s39 dst_sel:DWORD dst_unused:UNUSED_PAD src0_sel:WORD_1 src1_sel:DWORD
	ds_read_b128 v[48:51], v42 offset:96
	ds_read2_b64 v[10:13], v47 offset0:64 offset1:96
	v_pk_fma_f16 v14, v54, v73, v14
	v_pk_fma_f16 v15, v55, v73, v15
	s_waitcnt lgkmcnt(2)
	v_pk_fma_f16 v14, v4, v62, v14
	v_pk_fma_f16 v15, v5, v62, v15
	;; [unrolled: 1-line block ×8, first 2 shown]
	ds_read_b128 v[52:55], v42 offset:112
	v_pk_fma_f16 v14, v6, v67, v14
	v_pk_fma_f16 v15, v7, v67, v15
	s_waitcnt lgkmcnt(2)
	v_mul_u32_u24_sdwa v31, v48, s39 dst_sel:DWORD dst_unused:UNUSED_PAD src0_sel:WORD_0 src1_sel:DWORD
	v_pk_fma_f16 v56, v7, v63, v57
	v_pk_fma_f16 v29, v6, v63, v29
	v_mul_u32_u24_sdwa v57, v48, s39 dst_sel:DWORD dst_unused:UNUSED_PAD src0_sel:WORD_1 src1_sel:DWORD
	v_pk_fma_f16 v48, v7, v64, v61
	v_pk_fma_f16 v30, v6, v64, v30
	;; [unrolled: 1-line block ×4, first 2 shown]
	s_waitcnt lgkmcnt(1)
	v_pk_fma_f16 v14, v10, v68, v14
	v_pk_fma_f16 v15, v11, v68, v15
	;; [unrolled: 1-line block ×8, first 2 shown]
	v_mul_u32_u24_sdwa v60, v49, s39 dst_sel:DWORD dst_unused:UNUSED_PAD src0_sel:WORD_0 src1_sel:DWORD
	v_mul_u32_u24_sdwa v63, v49, s39 dst_sel:DWORD dst_unused:UNUSED_PAD src0_sel:WORD_1 src1_sel:DWORD
	v_mul_u32_u24_sdwa v64, v50, s39 dst_sel:DWORD dst_unused:UNUSED_PAD src0_sel:WORD_0 src1_sel:DWORD
	v_mul_u32_u24_sdwa v65, v50, s39 dst_sel:DWORD dst_unused:UNUSED_PAD src0_sel:WORD_1 src1_sel:DWORD
	;; [unrolled: 2-line block ×3, first 2 shown]
	ds_read2_b64 v[4:7], v47 offset0:128 offset1:160
	ds_read2_b64 v[48:51], v47 offset0:192 offset1:224
	s_waitcnt lgkmcnt(0)
	s_barrier
	v_pk_fma_f16 v14, v12, v72, v14
	v_pk_fma_f16 v15, v13, v72, v15
	;; [unrolled: 1-line block ×8, first 2 shown]
	global_load_dwordx4 v[8:11], v[8:9], off
	v_pk_fma_f16 v14, v4, v63, v14
	v_pk_fma_f16 v15, v5, v63, v15
	;; [unrolled: 1-line block ×8, first 2 shown]
	v_mul_u32_u24_sdwa v58, v52, s39 dst_sel:DWORD dst_unused:UNUSED_PAD src0_sel:WORD_0 src1_sel:DWORD
	v_mul_u32_u24_sdwa v52, v52, s39 dst_sel:DWORD dst_unused:UNUSED_PAD src0_sel:WORD_1 src1_sel:DWORD
	v_mul_u32_u24_sdwa v61, v53, s39 dst_sel:DWORD dst_unused:UNUSED_PAD src0_sel:WORD_0 src1_sel:DWORD
	v_mul_u32_u24_sdwa v53, v53, s39 dst_sel:DWORD dst_unused:UNUSED_PAD src0_sel:WORD_1 src1_sel:DWORD
	v_pk_fma_f16 v12, v6, v73, v14
	v_pk_fma_f16 v14, v7, v73, v15
	v_pk_fma_f16 v15, v7, v64, v56
	v_pk_fma_f16 v30, v7, v65, v59
	v_pk_fma_f16 v5, v7, v67, v5
	v_pk_fma_f16 v7, v6, v64, v13
	v_pk_fma_f16 v13, v6, v65, v29
	v_pk_fma_f16 v4, v6, v67, v4
	v_mul_u32_u24_sdwa v62, v54, s39 dst_sel:DWORD dst_unused:UNUSED_PAD src0_sel:WORD_0 src1_sel:DWORD
	v_mul_u32_u24_sdwa v54, v54, s39 dst_sel:DWORD dst_unused:UNUSED_PAD src0_sel:WORD_1 src1_sel:DWORD
	v_mul_u32_u24_sdwa v66, v55, s39 dst_sel:DWORD dst_unused:UNUSED_PAD src0_sel:WORD_0 src1_sel:DWORD
	v_mul_u32_u24_sdwa v55, v55, s39 dst_sel:DWORD dst_unused:UNUSED_PAD src0_sel:WORD_1 src1_sel:DWORD
	v_pk_fma_f16 v6, v48, v53, v12
	v_pk_fma_f16 v12, v49, v53, v14
	;; [unrolled: 1-line block ×16, first 2 shown]
	s_waitcnt vmcnt(0)
	ds_write_b128 v43, v[8:11]
	s_waitcnt lgkmcnt(0)
	s_barrier
	ds_read_b128 v[4:7], v42 offset:128
	ds_read_b128 v[8:11], v42 offset:144
	;; [unrolled: 1-line block ×4, first 2 shown]
	s_waitcnt lgkmcnt(3)
	v_mul_u32_u24_sdwa v57, v4, s39 dst_sel:DWORD dst_unused:UNUSED_PAD src0_sel:WORD_0 src1_sel:DWORD
	v_mul_u32_u24_sdwa v58, v4, s39 dst_sel:DWORD dst_unused:UNUSED_PAD src0_sel:WORD_1 src1_sel:DWORD
	v_mul_u32_u24_sdwa v59, v5, s39 dst_sel:DWORD dst_unused:UNUSED_PAD src0_sel:WORD_0 src1_sel:DWORD
	v_mul_u32_u24_sdwa v60, v5, s39 dst_sel:DWORD dst_unused:UNUSED_PAD src0_sel:WORD_1 src1_sel:DWORD
	;; [unrolled: 2-line block ×4, first 2 shown]
	ds_read2_b64 v[4:7], v46 offset1:32
	s_waitcnt lgkmcnt(3)
	v_mul_u32_u24_sdwa v66, v9, s39 dst_sel:DWORD dst_unused:UNUSED_PAD src0_sel:WORD_0 src1_sel:DWORD
	v_mul_u32_u24_sdwa v67, v9, s39 dst_sel:DWORD dst_unused:UNUSED_PAD src0_sel:WORD_1 src1_sel:DWORD
	v_mul_u32_u24_sdwa v68, v10, s39 dst_sel:DWORD dst_unused:UNUSED_PAD src0_sel:WORD_0 src1_sel:DWORD
	v_mul_u32_u24_sdwa v69, v10, s39 dst_sel:DWORD dst_unused:UNUSED_PAD src0_sel:WORD_1 src1_sel:DWORD
	;; [unrolled: 2-line block ×3, first 2 shown]
	s_waitcnt lgkmcnt(2)
	v_mul_u32_u24_sdwa v72, v12, s39 dst_sel:DWORD dst_unused:UNUSED_PAD src0_sel:WORD_0 src1_sel:DWORD
	v_mul_u32_u24_sdwa v73, v12, s39 dst_sel:DWORD dst_unused:UNUSED_PAD src0_sel:WORD_1 src1_sel:DWORD
	v_mul_u32_u24_sdwa v74, v13, s39 dst_sel:DWORD dst_unused:UNUSED_PAD src0_sel:WORD_0 src1_sel:DWORD
	v_mul_u32_u24_sdwa v75, v13, s39 dst_sel:DWORD dst_unused:UNUSED_PAD src0_sel:WORD_1 src1_sel:DWORD
	;; [unrolled: 2-line block ×3, first 2 shown]
	s_waitcnt lgkmcnt(0)
	v_pk_fma_f16 v9, v4, v57, v55
	v_pk_fma_f16 v10, v5, v57, v30
	;; [unrolled: 1-line block ×8, first 2 shown]
	v_mul_u32_u24_sdwa v78, v15, s39 dst_sel:DWORD dst_unused:UNUSED_PAD src0_sel:WORD_0 src1_sel:DWORD
	v_mul_u32_u24_sdwa v79, v15, s39 dst_sel:DWORD dst_unused:UNUSED_PAD src0_sel:WORD_1 src1_sel:DWORD
	v_pk_fma_f16 v9, v6, v61, v9
	v_pk_fma_f16 v10, v7, v61, v10
	;; [unrolled: 1-line block ×8, first 2 shown]
	ds_read2_b64 v[4:7], v46 offset0:64 offset1:96
	v_mul_u32_u24_sdwa v65, v8, s39 dst_sel:DWORD dst_unused:UNUSED_PAD src0_sel:WORD_0 src1_sel:DWORD
	v_mul_u32_u24_sdwa v8, v8, s39 dst_sel:DWORD dst_unused:UNUSED_PAD src0_sel:WORD_1 src1_sel:DWORD
	v_mul_u32_u24_sdwa v80, v48, s39 dst_sel:DWORD dst_unused:UNUSED_PAD src0_sel:WORD_0 src1_sel:DWORD
	v_mul_u32_u24_sdwa v48, v48, s39 dst_sel:DWORD dst_unused:UNUSED_PAD src0_sel:WORD_1 src1_sel:DWORD
	s_waitcnt lgkmcnt(0)
	v_pk_fma_f16 v30, v4, v65, v9
	v_pk_fma_f16 v31, v5, v65, v10
	;; [unrolled: 1-line block ×8, first 2 shown]
	ds_read_b128 v[8:11], v42 offset:192
	v_pk_fma_f16 v29, v6, v68, v30
	v_pk_fma_f16 v30, v7, v68, v31
	;; [unrolled: 1-line block ×4, first 2 shown]
	ds_read_b128 v[12:15], v42 offset:208
	v_pk_fma_f16 v53, v6, v70, v53
	v_pk_fma_f16 v54, v7, v70, v54
	;; [unrolled: 1-line block ×4, first 2 shown]
	ds_read2_b64 v[4:7], v46 offset0:128 offset1:160
	s_waitcnt lgkmcnt(2)
	v_mul_u32_u24_sdwa v55, v8, s39 dst_sel:DWORD dst_unused:UNUSED_PAD src0_sel:WORD_0 src1_sel:DWORD
	v_mul_u32_u24_sdwa v58, v8, s39 dst_sel:DWORD dst_unused:UNUSED_PAD src0_sel:WORD_1 src1_sel:DWORD
	v_mul_u32_u24_sdwa v59, v9, s39 dst_sel:DWORD dst_unused:UNUSED_PAD src0_sel:WORD_0 src1_sel:DWORD
	v_mul_u32_u24_sdwa v60, v9, s39 dst_sel:DWORD dst_unused:UNUSED_PAD src0_sel:WORD_1 src1_sel:DWORD
	;; [unrolled: 2-line block ×4, first 2 shown]
	s_waitcnt lgkmcnt(1)
	v_mul_u32_u24_sdwa v65, v12, s39 dst_sel:DWORD dst_unused:UNUSED_PAD src0_sel:WORD_0 src1_sel:DWORD
	v_mul_u32_u24_sdwa v66, v12, s39 dst_sel:DWORD dst_unused:UNUSED_PAD src0_sel:WORD_1 src1_sel:DWORD
	v_mul_u32_u24_sdwa v67, v13, s39 dst_sel:DWORD dst_unused:UNUSED_PAD src0_sel:WORD_0 src1_sel:DWORD
	v_mul_u32_u24_sdwa v68, v13, s39 dst_sel:DWORD dst_unused:UNUSED_PAD src0_sel:WORD_1 src1_sel:DWORD
	s_waitcnt lgkmcnt(0)
	v_pk_fma_f16 v8, v4, v72, v29
	v_pk_fma_f16 v9, v5, v72, v30
	;; [unrolled: 1-line block ×8, first 2 shown]
	v_mul_u32_u24_sdwa v69, v14, s39 dst_sel:DWORD dst_unused:UNUSED_PAD src0_sel:WORD_0 src1_sel:DWORD
	v_mul_u32_u24_sdwa v70, v14, s39 dst_sel:DWORD dst_unused:UNUSED_PAD src0_sel:WORD_1 src1_sel:DWORD
	v_mul_u32_u24_sdwa v71, v15, s39 dst_sel:DWORD dst_unused:UNUSED_PAD src0_sel:WORD_0 src1_sel:DWORD
	v_mul_u32_u24_sdwa v84, v15, s39 dst_sel:DWORD dst_unused:UNUSED_PAD src0_sel:WORD_1 src1_sel:DWORD
	v_pk_fma_f16 v8, v6, v76, v8
	v_pk_fma_f16 v9, v7, v76, v9
	;; [unrolled: 1-line block ×8, first 2 shown]
	ds_read2_b64 v[4:7], v46 offset0:192 offset1:224
	v_mul_u32_u24_sdwa v81, v49, s39 dst_sel:DWORD dst_unused:UNUSED_PAD src0_sel:WORD_0 src1_sel:DWORD
	v_mul_u32_u24_sdwa v49, v49, s39 dst_sel:DWORD dst_unused:UNUSED_PAD src0_sel:WORD_1 src1_sel:DWORD
	v_mul_u32_u24_sdwa v82, v50, s39 dst_sel:DWORD dst_unused:UNUSED_PAD src0_sel:WORD_0 src1_sel:DWORD
	v_mul_u32_u24_sdwa v50, v50, s39 dst_sel:DWORD dst_unused:UNUSED_PAD src0_sel:WORD_1 src1_sel:DWORD
	;; [unrolled: 2-line block ×3, first 2 shown]
	s_waitcnt lgkmcnt(0)
	v_pk_fma_f16 v29, v4, v80, v8
	v_pk_fma_f16 v30, v5, v80, v9
	;; [unrolled: 1-line block ×8, first 2 shown]
	ds_read_b128 v[8:11], v42 offset:224
	ds_read_b128 v[12:15], v42 offset:240
	v_pk_fma_f16 v29, v6, v82, v29
	v_pk_fma_f16 v30, v7, v82, v30
	v_pk_fma_f16 v31, v6, v50, v31
	v_pk_fma_f16 v48, v7, v50, v48
	v_pk_fma_f16 v49, v6, v83, v52
	v_pk_fma_f16 v50, v7, v83, v53
	v_pk_fma_f16 v53, v6, v51, v4
	v_pk_fma_f16 v51, v7, v51, v5
	ds_read2_b64 v[4:7], v47 offset1:32
	s_waitcnt lgkmcnt(2)
	v_mul_u32_u24_sdwa v52, v8, s39 dst_sel:DWORD dst_unused:UNUSED_PAD src0_sel:WORD_0 src1_sel:DWORD
	v_mul_u32_u24_sdwa v54, v8, s39 dst_sel:DWORD dst_unused:UNUSED_PAD src0_sel:WORD_1 src1_sel:DWORD
	v_mul_u32_u24_sdwa v56, v9, s39 dst_sel:DWORD dst_unused:UNUSED_PAD src0_sel:WORD_0 src1_sel:DWORD
	v_mul_u32_u24_sdwa v57, v9, s39 dst_sel:DWORD dst_unused:UNUSED_PAD src0_sel:WORD_1 src1_sel:DWORD
	;; [unrolled: 2-line block ×4, first 2 shown]
	s_waitcnt lgkmcnt(1)
	v_mul_u32_u24_sdwa v76, v12, s39 dst_sel:DWORD dst_unused:UNUSED_PAD src0_sel:WORD_0 src1_sel:DWORD
	v_mul_u32_u24_sdwa v77, v12, s39 dst_sel:DWORD dst_unused:UNUSED_PAD src0_sel:WORD_1 src1_sel:DWORD
	v_mul_u32_u24_sdwa v78, v13, s39 dst_sel:DWORD dst_unused:UNUSED_PAD src0_sel:WORD_0 src1_sel:DWORD
	v_mul_u32_u24_sdwa v79, v13, s39 dst_sel:DWORD dst_unused:UNUSED_PAD src0_sel:WORD_1 src1_sel:DWORD
	s_waitcnt lgkmcnt(0)
	v_pk_fma_f16 v8, v4, v55, v29
	v_pk_fma_f16 v9, v5, v55, v30
	;; [unrolled: 1-line block ×8, first 2 shown]
	v_mul_u32_u24_sdwa v80, v14, s39 dst_sel:DWORD dst_unused:UNUSED_PAD src0_sel:WORD_0 src1_sel:DWORD
	v_mul_u32_u24_sdwa v81, v14, s39 dst_sel:DWORD dst_unused:UNUSED_PAD src0_sel:WORD_1 src1_sel:DWORD
	v_mul_u32_u24_sdwa v82, v15, s39 dst_sel:DWORD dst_unused:UNUSED_PAD src0_sel:WORD_0 src1_sel:DWORD
	v_mul_u32_u24_sdwa v83, v15, s39 dst_sel:DWORD dst_unused:UNUSED_PAD src0_sel:WORD_1 src1_sel:DWORD
	v_pk_fma_f16 v8, v6, v61, v8
	v_pk_fma_f16 v9, v7, v61, v9
	;; [unrolled: 1-line block ×8, first 2 shown]
	ds_read2_b64 v[4:7], v47 offset0:64 offset1:96
	s_waitcnt lgkmcnt(0)
	v_pk_fma_f16 v29, v4, v65, v8
	v_pk_fma_f16 v30, v5, v65, v9
	;; [unrolled: 1-line block ×4, first 2 shown]
	ds_read2_b64 v[8:11], v47 offset0:128 offset1:160
	v_pk_fma_f16 v49, v4, v67, v12
	v_pk_fma_f16 v50, v5, v67, v13
	;; [unrolled: 1-line block ×4, first 2 shown]
	ds_read2_b64 v[12:15], v47 offset0:192 offset1:224
	s_waitcnt lgkmcnt(0)
	s_barrier
	s_load_dword s4, s[18:19], 0x4
	v_pk_fma_f16 v29, v6, v69, v29
	v_pk_fma_f16 v30, v7, v69, v30
	;; [unrolled: 1-line block ×16, first 2 shown]
	s_waitcnt lgkmcnt(0)
	s_lshl_b32 s4, s4, 5
	v_pk_fma_f16 v6, v10, v72, v6
	v_pk_fma_f16 v7, v11, v72, v7
	v_pk_fma_f16 v9, v10, v73, v29
	v_pk_fma_f16 v29, v11, v73, v30
	v_pk_fma_f16 v30, v10, v74, v31
	v_pk_fma_f16 v8, v11, v74, v8
	v_pk_fma_f16 v4, v10, v75, v4
	v_pk_fma_f16 v5, v11, v75, v5
	s_add_i32 s2, s4, s2
	v_pk_fma_f16 v6, v12, v76, v6
	v_pk_fma_f16 v9, v12, v77, v9
	;; [unrolled: 1-line block ×8, first 2 shown]
	s_cmp_ge_i32 s2, s34
	v_pk_fma_f16 v53, v14, v80, v6
	v_pk_fma_f16 v51, v14, v81, v9
	;; [unrolled: 1-line block ×8, first 2 shown]
	s_cbranch_scc0 .LBB0_17
.LBB0_18:
	v_cmp_lt_i32_e32 vcc, v37, v28
	s_cmp_lg_u64 s[20:21], 0
	s_cselect_b64 s[4:5], -1, 0
	v_cndmask_b32_e32 v4, v25, v37, vcc
	v_cmp_lt_i32_e32 vcc, v38, v28
	v_lshlrev_b32_e32 v7, 2, v4
	ds_bpermute_b32 v5, v7, v21
	v_cndmask_b32_e32 v4, v25, v38, vcc
	v_cmp_lt_i32_e32 vcc, v39, v28
	v_lshlrev_b32_e32 v11, 2, v4
	ds_bpermute_b32 v6, v7, v18
	v_cndmask_b32_e32 v4, v25, v39, vcc
	v_lshlrev_b32_e32 v12, 2, v4
	ds_bpermute_b32 v4, v7, v20
	ds_bpermute_b32 v7, v7, v19
	v_cmp_lt_i32_e32 vcc, v36, v28
	s_cmp_eq_u32 s3, 0
	s_cselect_b64 s[6:7], -1, 0
	s_waitcnt lgkmcnt(1)
	v_pk_add_f32 v[4:5], v[20:21], v[4:5]
	s_waitcnt lgkmcnt(0)
	v_pk_add_f32 v[6:7], v[18:19], v[6:7]
	ds_bpermute_b32 v8, v11, v4
	ds_bpermute_b32 v9, v11, v5
	;; [unrolled: 1-line block ×4, first 2 shown]
	v_cndmask_b32_e32 v13, v25, v36, vcc
	v_lshlrev_b32_e32 v13, 2, v13
	s_waitcnt lgkmcnt(2)
	v_pk_add_f32 v[4:5], v[4:5], v[8:9]
	ds_bpermute_b32 v8, v12, v4
	s_waitcnt lgkmcnt(1)
	v_pk_add_f32 v[6:7], v[6:7], v[10:11]
	ds_bpermute_b32 v9, v12, v5
	ds_bpermute_b32 v10, v12, v6
	;; [unrolled: 1-line block ×3, first 2 shown]
	v_cmp_lt_i32_e32 vcc, v35, v28
	s_and_b64 s[4:5], s[6:7], s[4:5]
	s_waitcnt lgkmcnt(2)
	v_pk_add_f32 v[4:5], v[4:5], v[8:9]
	ds_bpermute_b32 v8, v13, v4
	s_waitcnt lgkmcnt(1)
	v_pk_add_f32 v[6:7], v[6:7], v[10:11]
	ds_bpermute_b32 v9, v13, v5
	ds_bpermute_b32 v10, v13, v6
	;; [unrolled: 1-line block ×3, first 2 shown]
	v_cndmask_b32_e32 v12, v25, v35, vcc
	v_lshlrev_b32_e32 v13, 2, v12
	s_waitcnt lgkmcnt(2)
	v_pk_add_f32 v[4:5], v[4:5], v[8:9]
	ds_bpermute_b32 v8, v13, v4
	s_waitcnt lgkmcnt(1)
	v_pk_add_f32 v[10:11], v[6:7], v[10:11]
	ds_bpermute_b32 v9, v13, v5
	ds_bpermute_b32 v12, v13, v10
	;; [unrolled: 1-line block ×3, first 2 shown]
	s_and_b64 vcc, exec, s[4:5]
	s_waitcnt lgkmcnt(2)
	v_pk_add_f32 v[6:7], v[4:5], v[8:9]
	s_waitcnt lgkmcnt(0)
	v_pk_add_f32 v[4:5], v[10:11], v[12:13]
	s_cbranch_vccz .LBB0_20
; %bb.19:
	v_add_u32_e32 v8, s35, v32
	v_ashrrev_i32_e32 v9, 31, v8
	v_lshl_add_u64 v[8:9], v[8:9], 2, s[20:21]
	global_load_dwordx4 v[8:11], v[8:9], off
	v_max_f32_e32 v12, v0, v0
	v_max_f32_e32 v13, v1, v1
	s_mov_b32 s5, 0x3fb8aa3b
	v_max_f32_e32 v14, v2, v2
	s_mov_b32 s2, 0xc2ce8ed0
	s_mov_b32 s4, 0x42b17218
	v_mov_b32_e32 v18, 0x7f800000
	s_waitcnt vmcnt(0)
	v_max_f32_e32 v15, v8, v8
	v_max_f32_e32 v12, v12, v15
	;; [unrolled: 1-line block ×3, first 2 shown]
	v_sub_f32_e32 v0, v0, v12
	v_max_f32_e32 v13, v13, v19
	v_sub_f32_e32 v8, v8, v12
	v_mul_f32_e32 v15, 0x3fb8aa3b, v0
	v_max_f32_e32 v20, v10, v10
	v_sub_f32_e32 v1, v1, v13
	v_mul_f32_e32 v19, 0x3fb8aa3b, v8
	v_fma_f32 v24, v0, s5, -v15
	v_rndne_f32_e32 v25, v15
	v_max_f32_e32 v14, v14, v20
	v_sub_f32_e32 v9, v9, v13
	v_mul_f32_e32 v20, 0x3fb8aa3b, v1
	v_fma_f32 v26, v8, s5, -v19
	v_rndne_f32_e32 v27, v19
	v_fmac_f32_e32 v24, 0x32a5705f, v0
	v_sub_f32_e32 v15, v15, v25
	v_sub_f32_e32 v2, v2, v14
	v_mul_f32_e32 v21, 0x3fb8aa3b, v9
	v_fma_f32 v28, v1, s5, -v20
	v_rndne_f32_e32 v30, v20
	v_fmac_f32_e32 v26, 0x32a5705f, v8
	v_sub_f32_e32 v19, v19, v27
	v_add_f32_e32 v15, v15, v24
	v_mul_f32_e32 v22, 0x3fb8aa3b, v2
	v_fma_f32 v31, v9, s5, -v21
	v_rndne_f32_e32 v34, v21
	v_cvt_i32_f32_e32 v25, v25
	v_fmac_f32_e32 v28, 0x32a5705f, v1
	v_sub_f32_e32 v20, v20, v30
	v_add_f32_e32 v19, v19, v26
	v_exp_f32_e32 v15, v15
	v_fma_f32 v35, v2, s5, -v22
	v_rndne_f32_e32 v36, v22
	v_cvt_i32_f32_e32 v27, v27
	v_fmac_f32_e32 v31, 0x32a5705f, v9
	v_sub_f32_e32 v21, v21, v34
	v_add_f32_e32 v20, v20, v28
	v_exp_f32_e32 v19, v19
	v_cvt_i32_f32_e32 v30, v30
	v_fmac_f32_e32 v35, 0x32a5705f, v2
	v_sub_f32_e32 v22, v22, v36
	v_add_f32_e32 v21, v21, v31
	v_exp_f32_e32 v20, v20
	v_cvt_i32_f32_e32 v34, v34
	v_add_f32_e32 v22, v22, v35
	v_exp_f32_e32 v21, v21
	v_cvt_i32_f32_e32 v36, v36
	v_exp_f32_e32 v22, v22
	v_ldexp_f32 v15, v15, v25
	v_cmp_ngt_f32_e32 vcc, s2, v0
	v_ldexp_f32 v19, v19, v27
	v_ldexp_f32 v20, v20, v30
	v_cndmask_b32_e32 v15, 0, v15, vcc
	v_cmp_ngt_f32_e32 vcc, s2, v8
	v_sub_f32_e32 v10, v10, v14
	v_ldexp_f32 v21, v21, v34
	v_cndmask_b32_e32 v19, 0, v19, vcc
	v_cmp_ngt_f32_e32 vcc, s2, v1
	v_mul_f32_e32 v23, 0x3fb8aa3b, v10
	v_ldexp_f32 v22, v22, v36
	v_cndmask_b32_e32 v20, 0, v20, vcc
	v_cmp_ngt_f32_e32 vcc, s2, v9
	v_fma_f32 v37, v10, s5, -v23
	v_rndne_f32_e32 v38, v23
	v_cndmask_b32_e32 v21, 0, v21, vcc
	v_cmp_ngt_f32_e32 vcc, s2, v2
	v_fmac_f32_e32 v37, 0x32a5705f, v10
	v_sub_f32_e32 v23, v23, v38
	v_cndmask_b32_e32 v22, 0, v22, vcc
	v_cmp_nlt_f32_e32 vcc, s4, v0
	v_add_f32_e32 v23, v23, v37
	v_cvt_i32_f32_e32 v38, v38
	v_cndmask_b32_e32 v0, v18, v15, vcc
	v_cvt_f16_f32_e32 v15, v0
	v_exp_f32_e32 v23, v23
	v_cmp_nlt_f32_e32 vcc, s4, v8
	v_mul_u32_u24_e32 v15, 0x10001, v15
	s_nop 0
	v_cndmask_b32_e32 v8, v18, v19, vcc
	v_cmp_nlt_f32_e32 vcc, s4, v1
	v_pk_mul_f16 v53, v53, v15
	v_pk_mul_f16 v54, v54, v15
	v_cndmask_b32_e32 v1, v18, v20, vcc
	v_cmp_nlt_f32_e32 vcc, s4, v9
	v_ldexp_f32 v15, v23, v38
	v_max_f32_e32 v20, v3, v3
	v_cndmask_b32_e32 v9, v18, v21, vcc
	v_cmp_nlt_f32_e32 vcc, s4, v2
	v_cvt_f16_f32_e32 v19, v1
	v_pk_fma_f32 v[6:7], v[6:7], v[0:1], v[8:9]
	v_cndmask_b32_e32 v2, v18, v22, vcc
	v_cmp_ngt_f32_e32 vcc, s2, v10
	v_mul_u32_u24_e32 v19, 0x10001, v19
	v_pk_mul_f16 v51, v51, v19
	v_cndmask_b32_e32 v15, 0, v15, vcc
	v_cmp_nlt_f32_e32 vcc, s4, v10
	v_pk_mul_f16 v52, v52, v19
	v_cvt_f16_f32_e32 v19, v2
	v_cndmask_b32_e32 v10, v18, v15, vcc
	v_max_f32_e32 v15, v11, v11
	v_max_f32_e32 v15, v20, v15
	v_sub_f32_e32 v3, v3, v15
	v_mul_f32_e32 v20, 0x3fb8aa3b, v3
	v_fma_f32 v21, v3, s5, -v20
	v_rndne_f32_e32 v22, v20
	v_fmac_f32_e32 v21, 0x32a5705f, v3
	v_sub_f32_e32 v20, v20, v22
	v_add_f32_e32 v20, v20, v21
	v_exp_f32_e32 v20, v20
	v_cvt_i32_f32_e32 v21, v22
	v_mul_u32_u24_e32 v19, 0x10001, v19
	v_sub_f32_e32 v11, v11, v15
	v_pk_mul_f16 v49, v49, v19
	v_pk_mul_f16 v50, v50, v19
	v_ldexp_f32 v19, v20, v21
	v_mul_f32_e32 v20, 0x3fb8aa3b, v11
	v_fma_f32 v21, v11, s5, -v20
	v_rndne_f32_e32 v22, v20
	v_fmac_f32_e32 v21, 0x32a5705f, v11
	v_sub_f32_e32 v20, v20, v22
	v_add_f32_e32 v20, v20, v21
	v_exp_f32_e32 v20, v20
	v_cvt_i32_f32_e32 v21, v22
	v_cmp_ngt_f32_e32 vcc, s2, v3
	s_nop 1
	v_cndmask_b32_e32 v19, 0, v19, vcc
	v_cmp_nlt_f32_e32 vcc, s4, v3
	s_nop 1
	v_cndmask_b32_e32 v3, v18, v19, vcc
	v_ldexp_f32 v19, v20, v21
	v_cvt_f16_f32_e32 v20, v3
	v_cmp_ngt_f32_e32 vcc, s2, v11
	s_nop 1
	v_cndmask_b32_e32 v19, 0, v19, vcc
	v_cmp_nlt_f32_e32 vcc, s4, v11
	s_nop 1
	v_cndmask_b32_e32 v11, v18, v19, vcc
	v_mul_u32_u24_e32 v18, 0x10001, v20
	v_pk_fma_f32 v[4:5], v[4:5], v[2:3], v[10:11]
	v_mov_b64_e32 v[0:1], v[12:13]
	v_pk_mul_f16 v48, v48, v18
	v_pk_mul_f16 v29, v29, v18
	v_mov_b64_e32 v[2:3], v[14:15]
.LBB0_20:
	v_cmp_gt_i32_e32 vcc, s30, v17
	s_and_saveexec_b64 s[4:5], vcc
	s_cbranch_execz .LBB0_37
; %bb.21:
	s_load_dword s8, s[0:1], 0xd4
	v_mov_b32_e32 v10, 1.0
	s_waitcnt lgkmcnt(0)
	s_cmp_lg_u32 s8, 1
	s_cselect_b64 s[0:1], -1, 0
	s_cmp_eq_u32 s8, 1
	s_cselect_b64 s[6:7], -1, 0
	s_and_b64 vcc, exec, s[0:1]
	s_cbranch_vccnz .LBB0_23
; %bb.22:
	v_div_scale_f32 v8, s[4:5], v6, v6, 1.0
	v_rcp_f32_e32 v9, v8
	v_div_scale_f32 v10, vcc, 1.0, v6, 1.0
	v_fma_f32 v11, -v8, v9, 1.0
	v_fmac_f32_e32 v9, v11, v9
	v_mul_f32_e32 v11, v10, v9
	v_fma_f32 v12, -v8, v11, v10
	v_fmac_f32_e32 v11, v12, v9
	v_fma_f32 v8, -v8, v11, v10
	v_div_fmas_f32 v8, v8, v9, v11
	v_div_fixup_f32 v10, v8, v6, 1.0
.LBB0_23:
	s_mul_i32 s33, s33, s30
	v_add_u32_e32 v8, s33, v17
	v_mul_lo_u32 v8, v8, s31
	v_add3_u32 v8, s35, v32, v8
	v_cmp_eq_u32_e32 vcc, 0, v16
	v_cvt_f32_f16_sdwa v15, v53 dst_sel:DWORD dst_unused:UNUSED_PAD src0_sel:WORD_1
	v_cvt_f32_f16_e32 v14, v53
	v_cvt_f32_f16_sdwa v17, v54 dst_sel:DWORD dst_unused:UNUSED_PAD src0_sel:WORD_1
	v_cvt_f32_f16_e32 v16, v54
	v_mul_lo_u32 v8, s8, v8
	v_add_u32_e32 v8, s3, v8
	v_lshl_add_u32 v12, v8, 7, v33
	v_mov_b32_e32 v13, 0
	s_and_b64 s[4:5], vcc, s[0:1]
	v_lshl_add_u64 v[18:19], v[12:13], 2, s[24:25]
	v_pk_mul_f32 v[12:13], v[10:11], v[14:15] op_sel_hi:[0,1]
	v_pk_mul_f32 v[14:15], v[10:11], v[16:17] op_sel_hi:[0,1]
	global_store_dwordx4 v[18:19], v[12:15], off
	s_and_saveexec_b64 s[0:1], s[4:5]
	s_cbranch_execz .LBB0_25
; %bb.24:
	v_ashrrev_i32_e32 v9, 31, v8
	v_lshl_add_u64 v[10:11], v[8:9], 3, s[26:27]
	v_mov_b32_e32 v12, v0
	v_mov_b32_e32 v13, v6
	global_store_dwordx2 v[10:11], v[12:13], off
.LBB0_25:
	s_or_b64 exec, exec, s[0:1]
	v_cndmask_b32_e64 v0, 0, 1, s[6:7]
	v_cmp_ne_u32_e64 s[0:1], 1, v0
	s_andn2_b64 vcc, exec, s[6:7]
	v_mov_b32_e32 v0, 1.0
	s_cbranch_vccnz .LBB0_27
; %bb.26:
	v_div_scale_f32 v0, s[2:3], v7, v7, 1.0
	v_rcp_f32_e32 v6, v0
	v_div_scale_f32 v9, vcc, 1.0, v7, 1.0
	v_fma_f32 v10, -v0, v6, 1.0
	v_fmac_f32_e32 v6, v10, v6
	v_mul_f32_e32 v10, v9, v6
	v_fma_f32 v11, -v0, v10, v9
	v_fmac_f32_e32 v10, v11, v6
	v_fma_f32 v0, -v0, v10, v9
	v_div_fmas_f32 v0, v0, v6, v10
	v_div_fixup_f32 v0, v0, v7, 1.0
.LBB0_27:
	v_cvt_f32_f16_sdwa v13, v51 dst_sel:DWORD dst_unused:UNUSED_PAD src0_sel:WORD_1
	v_cvt_f32_f16_e32 v12, v51
	v_cvt_f32_f16_sdwa v15, v52 dst_sel:DWORD dst_unused:UNUSED_PAD src0_sel:WORD_1
	v_cvt_f32_f16_e32 v14, v52
	v_add_u32_e32 v8, s8, v8
	v_lshl_add_u32 v10, v8, 7, v33
	v_mov_b32_e32 v11, 0
	v_lshl_add_u64 v[16:17], v[10:11], 2, s[24:25]
	v_pk_mul_f32 v[10:11], v[0:1], v[12:13] op_sel_hi:[0,1]
	v_pk_mul_f32 v[12:13], v[0:1], v[14:15] op_sel_hi:[0,1]
	global_store_dwordx4 v[16:17], v[10:13], off
	s_and_saveexec_b64 s[2:3], s[4:5]
	s_cbranch_execz .LBB0_29
; %bb.28:
	v_ashrrev_i32_e32 v9, 31, v8
	v_lshl_add_u64 v[10:11], v[8:9], 3, s[26:27]
	v_mov_b32_e32 v6, v1
	global_store_dwordx2 v[10:11], v[6:7], off
.LBB0_29:
	s_or_b64 exec, exec, s[2:3]
	s_and_b64 vcc, exec, s[0:1]
	v_mov_b32_e32 v6, 1.0
	s_cbranch_vccnz .LBB0_31
; %bb.30:
	v_div_scale_f32 v0, s[2:3], v4, v4, 1.0
	v_rcp_f32_e32 v1, v0
	v_div_scale_f32 v6, vcc, 1.0, v4, 1.0
	v_fma_f32 v7, -v0, v1, 1.0
	v_fmac_f32_e32 v1, v7, v1
	v_mul_f32_e32 v7, v6, v1
	v_fma_f32 v9, -v0, v7, v6
	v_fmac_f32_e32 v7, v9, v1
	v_fma_f32 v0, -v0, v7, v6
	v_div_fmas_f32 v0, v0, v1, v7
	v_div_fixup_f32 v6, v0, v4, 1.0
.LBB0_31:
	v_cvt_f32_f16_sdwa v11, v49 dst_sel:DWORD dst_unused:UNUSED_PAD src0_sel:WORD_1
	v_cvt_f32_f16_e32 v10, v49
	v_cvt_f32_f16_sdwa v13, v50 dst_sel:DWORD dst_unused:UNUSED_PAD src0_sel:WORD_1
	v_cvt_f32_f16_e32 v12, v50
	v_add_u32_e32 v0, s8, v8
	v_lshl_add_u32 v8, v0, 7, v33
	v_mov_b32_e32 v9, 0
	v_lshl_add_u64 v[14:15], v[8:9], 2, s[24:25]
	v_pk_mul_f32 v[8:9], v[6:7], v[10:11] op_sel_hi:[0,1]
	v_pk_mul_f32 v[10:11], v[6:7], v[12:13] op_sel_hi:[0,1]
	global_store_dwordx4 v[14:15], v[8:11], off
	s_and_saveexec_b64 s[2:3], s[4:5]
	s_cbranch_execz .LBB0_33
; %bb.32:
	v_ashrrev_i32_e32 v1, 31, v0
	v_lshl_add_u64 v[6:7], v[0:1], 3, s[26:27]
	v_mov_b32_e32 v8, v2
	v_mov_b32_e32 v9, v4
	global_store_dwordx2 v[6:7], v[8:9], off
.LBB0_33:
	s_or_b64 exec, exec, s[2:3]
	s_and_b64 vcc, exec, s[0:1]
	v_mov_b32_e32 v2, 1.0
	s_cbranch_vccnz .LBB0_35
; %bb.34:
	v_div_scale_f32 v1, s[0:1], v5, v5, 1.0
	v_rcp_f32_e32 v2, v1
	v_div_scale_f32 v4, vcc, 1.0, v5, 1.0
	v_fma_f32 v6, -v1, v2, 1.0
	v_fmac_f32_e32 v2, v6, v2
	v_mul_f32_e32 v6, v4, v2
	v_fma_f32 v7, -v1, v6, v4
	v_fmac_f32_e32 v6, v7, v2
	v_fma_f32 v1, -v1, v6, v4
	v_div_fmas_f32 v1, v1, v2, v6
	v_div_fixup_f32 v2, v1, v5, 1.0
.LBB0_35:
	v_cvt_f32_f16_sdwa v9, v48 dst_sel:DWORD dst_unused:UNUSED_PAD src0_sel:WORD_1
	v_cvt_f32_f16_e32 v8, v48
	v_cvt_f32_f16_sdwa v11, v29 dst_sel:DWORD dst_unused:UNUSED_PAD src0_sel:WORD_1
	v_cvt_f32_f16_e32 v10, v29
	v_add_u32_e32 v0, s8, v0
	v_lshl_add_u32 v6, v0, 7, v33
	v_mov_b32_e32 v7, 0
	v_lshl_add_u64 v[12:13], v[6:7], 2, s[24:25]
	v_pk_mul_f32 v[6:7], v[2:3], v[8:9] op_sel_hi:[0,1]
	v_pk_mul_f32 v[8:9], v[2:3], v[10:11] op_sel_hi:[0,1]
	global_store_dwordx4 v[12:13], v[6:9], off
	s_and_b64 exec, exec, s[4:5]
	s_cbranch_execz .LBB0_37
; %bb.36:
	v_ashrrev_i32_e32 v1, 31, v0
	v_lshl_add_u64 v[0:1], v[0:1], 3, s[26:27]
	v_mov_b32_e32 v4, v3
	global_store_dwordx2 v[0:1], v[4:5], off
.LBB0_37:
	s_endpgm
	.section	.rodata,"a",@progbits
	.p2align	6, 0x0
	.amdhsa_kernel _ZL15flash_attn_tileILi192ELi128ELi2ELi16ELb0EEvPKcS1_S1_S1_S1_PKiPfP15HIP_vector_typeIfLj2EEffffjfiS5_IjLj3EEiiiiiiiiiiiliiliiiiil
		.amdhsa_group_segment_fixed_size 18944
		.amdhsa_private_segment_fixed_size 0
		.amdhsa_kernarg_size 464
		.amdhsa_user_sgpr_count 2
		.amdhsa_user_sgpr_dispatch_ptr 0
		.amdhsa_user_sgpr_queue_ptr 0
		.amdhsa_user_sgpr_kernarg_segment_ptr 1
		.amdhsa_user_sgpr_dispatch_id 0
		.amdhsa_user_sgpr_kernarg_preload_length 0
		.amdhsa_user_sgpr_kernarg_preload_offset 0
		.amdhsa_user_sgpr_private_segment_size 0
		.amdhsa_uses_dynamic_stack 0
		.amdhsa_enable_private_segment 0
		.amdhsa_system_sgpr_workgroup_id_x 1
		.amdhsa_system_sgpr_workgroup_id_y 1
		.amdhsa_system_sgpr_workgroup_id_z 1
		.amdhsa_system_sgpr_workgroup_info 0
		.amdhsa_system_vgpr_workitem_id 1
		.amdhsa_next_free_vgpr 85
		.amdhsa_next_free_sgpr 48
		.amdhsa_accum_offset 88
		.amdhsa_reserve_vcc 1
		.amdhsa_float_round_mode_32 0
		.amdhsa_float_round_mode_16_64 0
		.amdhsa_float_denorm_mode_32 3
		.amdhsa_float_denorm_mode_16_64 3
		.amdhsa_dx10_clamp 1
		.amdhsa_ieee_mode 1
		.amdhsa_fp16_overflow 0
		.amdhsa_tg_split 0
		.amdhsa_exception_fp_ieee_invalid_op 0
		.amdhsa_exception_fp_denorm_src 0
		.amdhsa_exception_fp_ieee_div_zero 0
		.amdhsa_exception_fp_ieee_overflow 0
		.amdhsa_exception_fp_ieee_underflow 0
		.amdhsa_exception_fp_ieee_inexact 0
		.amdhsa_exception_int_div_zero 0
	.end_amdhsa_kernel
	.section	.text._ZL15flash_attn_tileILi192ELi128ELi2ELi16ELb0EEvPKcS1_S1_S1_S1_PKiPfP15HIP_vector_typeIfLj2EEffffjfiS5_IjLj3EEiiiiiiiiiiiliiliiiiil,"axG",@progbits,_ZL15flash_attn_tileILi192ELi128ELi2ELi16ELb0EEvPKcS1_S1_S1_S1_PKiPfP15HIP_vector_typeIfLj2EEffffjfiS5_IjLj3EEiiiiiiiiiiiliiliiiiil,comdat
.Lfunc_end0:
	.size	_ZL15flash_attn_tileILi192ELi128ELi2ELi16ELb0EEvPKcS1_S1_S1_S1_PKiPfP15HIP_vector_typeIfLj2EEffffjfiS5_IjLj3EEiiiiiiiiiiiliiliiiiil, .Lfunc_end0-_ZL15flash_attn_tileILi192ELi128ELi2ELi16ELb0EEvPKcS1_S1_S1_S1_PKiPfP15HIP_vector_typeIfLj2EEffffjfiS5_IjLj3EEiiiiiiiiiiiliiliiiiil
                                        ; -- End function
	.set _ZL15flash_attn_tileILi192ELi128ELi2ELi16ELb0EEvPKcS1_S1_S1_S1_PKiPfP15HIP_vector_typeIfLj2EEffffjfiS5_IjLj3EEiiiiiiiiiiiliiliiiiil.num_vgpr, 85
	.set _ZL15flash_attn_tileILi192ELi128ELi2ELi16ELb0EEvPKcS1_S1_S1_S1_PKiPfP15HIP_vector_typeIfLj2EEffffjfiS5_IjLj3EEiiiiiiiiiiiliiliiiiil.num_agpr, 0
	.set _ZL15flash_attn_tileILi192ELi128ELi2ELi16ELb0EEvPKcS1_S1_S1_S1_PKiPfP15HIP_vector_typeIfLj2EEffffjfiS5_IjLj3EEiiiiiiiiiiiliiliiiiil.numbered_sgpr, 48
	.set _ZL15flash_attn_tileILi192ELi128ELi2ELi16ELb0EEvPKcS1_S1_S1_S1_PKiPfP15HIP_vector_typeIfLj2EEffffjfiS5_IjLj3EEiiiiiiiiiiiliiliiiiil.num_named_barrier, 0
	.set _ZL15flash_attn_tileILi192ELi128ELi2ELi16ELb0EEvPKcS1_S1_S1_S1_PKiPfP15HIP_vector_typeIfLj2EEffffjfiS5_IjLj3EEiiiiiiiiiiiliiliiiiil.private_seg_size, 0
	.set _ZL15flash_attn_tileILi192ELi128ELi2ELi16ELb0EEvPKcS1_S1_S1_S1_PKiPfP15HIP_vector_typeIfLj2EEffffjfiS5_IjLj3EEiiiiiiiiiiiliiliiiiil.uses_vcc, 1
	.set _ZL15flash_attn_tileILi192ELi128ELi2ELi16ELb0EEvPKcS1_S1_S1_S1_PKiPfP15HIP_vector_typeIfLj2EEffffjfiS5_IjLj3EEiiiiiiiiiiiliiliiiiil.uses_flat_scratch, 0
	.set _ZL15flash_attn_tileILi192ELi128ELi2ELi16ELb0EEvPKcS1_S1_S1_S1_PKiPfP15HIP_vector_typeIfLj2EEffffjfiS5_IjLj3EEiiiiiiiiiiiliiliiiiil.has_dyn_sized_stack, 0
	.set _ZL15flash_attn_tileILi192ELi128ELi2ELi16ELb0EEvPKcS1_S1_S1_S1_PKiPfP15HIP_vector_typeIfLj2EEffffjfiS5_IjLj3EEiiiiiiiiiiiliiliiiiil.has_recursion, 0
	.set _ZL15flash_attn_tileILi192ELi128ELi2ELi16ELb0EEvPKcS1_S1_S1_S1_PKiPfP15HIP_vector_typeIfLj2EEffffjfiS5_IjLj3EEiiiiiiiiiiiliiliiiiil.has_indirect_call, 0
	.section	.AMDGPU.csdata,"",@progbits
; Kernel info:
; codeLenInByte = 18360
; TotalNumSgprs: 54
; NumVgprs: 85
; NumAgprs: 0
; TotalNumVgprs: 85
; ScratchSize: 0
; MemoryBound: 0
; FloatMode: 240
; IeeeMode: 1
; LDSByteSize: 18944 bytes/workgroup (compile time only)
; SGPRBlocks: 6
; VGPRBlocks: 10
; NumSGPRsForWavesPerEU: 54
; NumVGPRsForWavesPerEU: 85
; AccumOffset: 88
; Occupancy: 5
; WaveLimiterHint : 1
; COMPUTE_PGM_RSRC2:SCRATCH_EN: 0
; COMPUTE_PGM_RSRC2:USER_SGPR: 2
; COMPUTE_PGM_RSRC2:TRAP_HANDLER: 0
; COMPUTE_PGM_RSRC2:TGID_X_EN: 1
; COMPUTE_PGM_RSRC2:TGID_Y_EN: 1
; COMPUTE_PGM_RSRC2:TGID_Z_EN: 1
; COMPUTE_PGM_RSRC2:TIDIG_COMP_CNT: 1
; COMPUTE_PGM_RSRC3_GFX90A:ACCUM_OFFSET: 21
; COMPUTE_PGM_RSRC3_GFX90A:TG_SPLIT: 0
	.section	.text._ZL25flash_attn_mask_to_KV_maxILi2EEvPK7__half2Piiii,"axG",@progbits,_ZL25flash_attn_mask_to_KV_maxILi2EEvPK7__half2Piiii,comdat
	.globl	_ZL25flash_attn_mask_to_KV_maxILi2EEvPK7__half2Piiii ; -- Begin function _ZL25flash_attn_mask_to_KV_maxILi2EEvPK7__half2Piiii
	.p2align	8
	.type	_ZL25flash_attn_mask_to_KV_maxILi2EEvPK7__half2Piiii,@function
_ZL25flash_attn_mask_to_KV_maxILi2EEvPK7__half2Piiii: ; @_ZL25flash_attn_mask_to_KV_maxILi2EEvPK7__half2Piiii
; %bb.0:
	s_load_dwordx4 s[4:7], s[0:1], 0x0
	v_cmp_gt_u32_e32 vcc, 32, v0
	s_and_saveexec_b64 s[8:9], vcc
; %bb.1:
	v_lshlrev_b32_e32 v1, 2, v0
	v_mov_b32_e32 v2, 1
	ds_write_b32 v1, v2
; %bb.2:
	s_or_b64 exec, exec, s[8:9]
	s_load_dwordx4 s[8:11], s[0:1], 0x10
	s_load_dword s16, s[0:1], 0x20
	v_and_b32_e32 v2, 31, v0
	v_lshlrev_b32_e32 v4, 2, v2
	v_lshrrev_b32_e32 v1, 3, v0
	s_waitcnt lgkmcnt(0)
	s_mul_i32 s1, s2, s9
	s_mul_i32 s0, s10, s3
	s_lshl_b32 s1, s1, 1
	s_add_i32 s0, s0, s1
	s_ashr_i32 s1, s0, 31
	s_lshl_b64 s[0:1], s[0:1], 2
	s_add_u32 s10, s4, s0
	s_addc_u32 s11, s5, s1
	v_cmp_eq_u32_e64 s[0:1], 0, v2
	v_mbcnt_lo_u32_b32 v2, -1, 0
	v_mbcnt_hi_u32_b32 v5, -1, v2
	v_and_b32_e32 v2, 0x60, v5
	s_lshl_b32 s8, s8, 8
	s_mov_b64 s[12:13], 0
	v_mov_b32_e32 v3, 0
	s_movk_i32 s17, 0x204
	v_add_u32_e32 v6, 32, v2
	v_xor_b32_e32 v7, 16, v5
	v_xor_b32_e32 v8, 8, v5
	;; [unrolled: 1-line block ×5, first 2 shown]
	s_barrier
                                        ; implicit-def: $sgpr4_sgpr5
	s_branch .LBB1_5
.LBB1_3:                                ;   in Loop: Header=BB1_5 Depth=1
	s_or_b64 exec, exec, s[14:15]
	s_waitcnt lgkmcnt(0)
	s_barrier
	ds_read_b32 v16, v4
	s_waitcnt lgkmcnt(0)
	s_barrier
	ds_bpermute_b32 v2, v2, v16
	v_cmp_ne_u32_e32 vcc, 0, v16
	s_waitcnt lgkmcnt(0)
	v_cmp_ne_u32_e64 s[4:5], 0, v2
	s_and_b64 s[4:5], vcc, s[4:5]
	s_nop 0
	v_cndmask_b32_e64 v2, 0, 1, s[4:5]
	ds_bpermute_b32 v2, v12, v2
	s_waitcnt lgkmcnt(0)
	v_cmp_ne_u32_e32 vcc, 0, v2
	s_and_b64 s[4:5], vcc, s[4:5]
	v_cndmask_b32_e64 v2, 0, 1, s[4:5]
	ds_bpermute_b32 v2, v13, v2
	s_waitcnt lgkmcnt(0)
	v_cmp_ne_u32_e32 vcc, 0, v2
	s_and_b64 s[4:5], vcc, s[4:5]
	;; [unrolled: 5-line block ×3, first 2 shown]
	v_cndmask_b32_e64 v2, 0, 1, s[4:5]
	ds_bpermute_b32 v2, v15, v2
	s_xor_b64 s[4:5], s[4:5], -1
	s_waitcnt lgkmcnt(0)
	v_cmp_eq_u32_e32 vcc, 0, v2
	s_or_b64 s[4:5], vcc, s[4:5]
.LBB1_4:                                ;   in Loop: Header=BB1_5 Depth=1
	s_and_b64 s[14:15], exec, s[4:5]
	s_or_b64 s[12:13], s[14:15], s[12:13]
	v_mov_b32_e32 v2, s8
	s_mov_b32 s8, s18
	s_andn2_b64 exec, exec, s[12:13]
	s_cbranch_execz .LBB1_12
.LBB1_5:                                ; =>This Inner Loop Header: Depth=1
	s_add_i32 s18, s8, 0xffffff00
	s_or_b64 s[4:5], s[4:5], exec
	s_cmp_lt_i32 s18, 0
	s_cbranch_scc1 .LBB1_4
; %bb.6:                                ;   in Loop: Header=BB1_5 Depth=1
	s_lshr_b32 s4, s18, 1
	v_add_u32_e32 v2, s4, v0
	v_lshl_add_u64 v[12:13], v[2:3], 2, s[10:11]
	global_load_dword v12, v[12:13], off
	s_waitcnt vmcnt(0)
	v_cmp_class_f16_e64 s[4:5], v12, s17
	v_cmp_class_f16_sdwa s[14:15], v12, s17 src0_sel:WORD_1 src1_sel:DWORD
	s_and_b64 s[14:15], s[4:5], s[14:15]
	v_mov_b32_e32 v12, 0
	s_and_saveexec_b64 s[4:5], s[14:15]
	s_cbranch_execz .LBB1_10
; %bb.7:                                ;   in Loop: Header=BB1_5 Depth=1
	v_add_u32_e32 v12, s9, v2
	v_ashrrev_i32_e32 v13, 31, v12
	v_lshl_add_u64 v[12:13], v[12:13], 2, s[10:11]
	global_load_dword v2, v[12:13], off
	v_mov_b32_e32 v12, 0
	s_waitcnt vmcnt(0)
	v_cmp_class_f16_e64 s[20:21], v2, s17
	s_and_saveexec_b64 s[14:15], s[20:21]
; %bb.8:                                ;   in Loop: Header=BB1_5 Depth=1
	v_cmp_class_f16_sdwa s[20:21], v2, s17 src0_sel:WORD_1 src1_sel:DWORD
	s_nop 1
	v_cndmask_b32_e64 v12, 0, 1, s[20:21]
; %bb.9:                                ;   in Loop: Header=BB1_5 Depth=1
	s_or_b64 exec, exec, s[14:15]
.LBB1_10:                               ;   in Loop: Header=BB1_5 Depth=1
	s_or_b64 exec, exec, s[4:5]
	v_cmp_lt_i32_e32 vcc, v7, v6
	s_nop 1
	v_cndmask_b32_e32 v2, v5, v7, vcc
	v_lshlrev_b32_e32 v2, 2, v2
	ds_bpermute_b32 v13, v2, v12
	v_cmp_ne_u32_e32 vcc, 0, v12
	s_waitcnt lgkmcnt(0)
	v_cmp_ne_u32_e64 s[4:5], 0, v13
	s_and_b64 s[4:5], vcc, s[4:5]
	v_cmp_lt_i32_e32 vcc, v8, v6
	v_cndmask_b32_e64 v13, 0, 1, s[4:5]
	s_nop 0
	v_cndmask_b32_e32 v12, v5, v8, vcc
	v_lshlrev_b32_e32 v12, 2, v12
	ds_bpermute_b32 v13, v12, v13
	s_waitcnt lgkmcnt(0)
	v_cmp_ne_u32_e32 vcc, 0, v13
	s_and_b64 s[4:5], vcc, s[4:5]
	v_cmp_lt_i32_e32 vcc, v9, v6
	v_cndmask_b32_e64 v14, 0, 1, s[4:5]
	s_nop 0
	v_cndmask_b32_e32 v13, v5, v9, vcc
	v_lshlrev_b32_e32 v13, 2, v13
	ds_bpermute_b32 v14, v13, v14
	s_waitcnt lgkmcnt(0)
	v_cmp_ne_u32_e32 vcc, 0, v14
	;; [unrolled: 9-line block ×3, first 2 shown]
	s_and_b64 s[4:5], vcc, s[4:5]
	v_cmp_lt_i32_e32 vcc, v11, v6
	v_cndmask_b32_e64 v16, 0, 1, s[4:5]
	s_nop 0
	v_cndmask_b32_e32 v15, v5, v11, vcc
	v_lshlrev_b32_e32 v15, 2, v15
	ds_bpermute_b32 v16, v15, v16
	s_and_saveexec_b64 s[14:15], s[0:1]
	s_cbranch_execz .LBB1_3
; %bb.11:                               ;   in Loop: Header=BB1_5 Depth=1
	s_waitcnt lgkmcnt(0)
	v_cmp_ne_u32_e32 vcc, 0, v16
	s_and_b64 s[4:5], vcc, s[4:5]
	v_cndmask_b32_e64 v16, 0, 1, s[4:5]
	ds_write_b32 v1, v16
	s_branch .LBB1_3
.LBB1_12:
	s_or_b64 exec, exec, s[12:13]
	v_cmp_eq_u32_e32 vcc, 0, v0
	s_and_saveexec_b64 s[0:1], vcc
	s_cbranch_execz .LBB1_14
; %bb.13:
	s_mul_i32 s0, s16, s3
	s_add_i32 s0, s0, s2
	s_ashr_i32 s1, s0, 31
	s_lshl_b64 s[0:1], s[0:1], 2
	s_add_u32 s0, s6, s0
	s_addc_u32 s1, s7, s1
	v_mov_b32_e32 v0, 0
	global_store_dword v0, v2, s[0:1]
.LBB1_14:
	s_endpgm
	.section	.rodata,"a",@progbits
	.p2align	6, 0x0
	.amdhsa_kernel _ZL25flash_attn_mask_to_KV_maxILi2EEvPK7__half2Piiii
		.amdhsa_group_segment_fixed_size 128
		.amdhsa_private_segment_fixed_size 0
		.amdhsa_kernarg_size 288
		.amdhsa_user_sgpr_count 2
		.amdhsa_user_sgpr_dispatch_ptr 0
		.amdhsa_user_sgpr_queue_ptr 0
		.amdhsa_user_sgpr_kernarg_segment_ptr 1
		.amdhsa_user_sgpr_dispatch_id 0
		.amdhsa_user_sgpr_kernarg_preload_length 0
		.amdhsa_user_sgpr_kernarg_preload_offset 0
		.amdhsa_user_sgpr_private_segment_size 0
		.amdhsa_uses_dynamic_stack 0
		.amdhsa_enable_private_segment 0
		.amdhsa_system_sgpr_workgroup_id_x 1
		.amdhsa_system_sgpr_workgroup_id_y 1
		.amdhsa_system_sgpr_workgroup_id_z 0
		.amdhsa_system_sgpr_workgroup_info 0
		.amdhsa_system_vgpr_workitem_id 0
		.amdhsa_next_free_vgpr 17
		.amdhsa_next_free_sgpr 22
		.amdhsa_accum_offset 20
		.amdhsa_reserve_vcc 1
		.amdhsa_float_round_mode_32 0
		.amdhsa_float_round_mode_16_64 0
		.amdhsa_float_denorm_mode_32 3
		.amdhsa_float_denorm_mode_16_64 3
		.amdhsa_dx10_clamp 1
		.amdhsa_ieee_mode 1
		.amdhsa_fp16_overflow 0
		.amdhsa_tg_split 0
		.amdhsa_exception_fp_ieee_invalid_op 0
		.amdhsa_exception_fp_denorm_src 0
		.amdhsa_exception_fp_ieee_div_zero 0
		.amdhsa_exception_fp_ieee_overflow 0
		.amdhsa_exception_fp_ieee_underflow 0
		.amdhsa_exception_fp_ieee_inexact 0
		.amdhsa_exception_int_div_zero 0
	.end_amdhsa_kernel
	.section	.text._ZL25flash_attn_mask_to_KV_maxILi2EEvPK7__half2Piiii,"axG",@progbits,_ZL25flash_attn_mask_to_KV_maxILi2EEvPK7__half2Piiii,comdat
.Lfunc_end1:
	.size	_ZL25flash_attn_mask_to_KV_maxILi2EEvPK7__half2Piiii, .Lfunc_end1-_ZL25flash_attn_mask_to_KV_maxILi2EEvPK7__half2Piiii
                                        ; -- End function
	.set _ZL25flash_attn_mask_to_KV_maxILi2EEvPK7__half2Piiii.num_vgpr, 17
	.set _ZL25flash_attn_mask_to_KV_maxILi2EEvPK7__half2Piiii.num_agpr, 0
	.set _ZL25flash_attn_mask_to_KV_maxILi2EEvPK7__half2Piiii.numbered_sgpr, 22
	.set _ZL25flash_attn_mask_to_KV_maxILi2EEvPK7__half2Piiii.num_named_barrier, 0
	.set _ZL25flash_attn_mask_to_KV_maxILi2EEvPK7__half2Piiii.private_seg_size, 0
	.set _ZL25flash_attn_mask_to_KV_maxILi2EEvPK7__half2Piiii.uses_vcc, 1
	.set _ZL25flash_attn_mask_to_KV_maxILi2EEvPK7__half2Piiii.uses_flat_scratch, 0
	.set _ZL25flash_attn_mask_to_KV_maxILi2EEvPK7__half2Piiii.has_dyn_sized_stack, 0
	.set _ZL25flash_attn_mask_to_KV_maxILi2EEvPK7__half2Piiii.has_recursion, 0
	.set _ZL25flash_attn_mask_to_KV_maxILi2EEvPK7__half2Piiii.has_indirect_call, 0
	.section	.AMDGPU.csdata,"",@progbits
; Kernel info:
; codeLenInByte = 836
; TotalNumSgprs: 28
; NumVgprs: 17
; NumAgprs: 0
; TotalNumVgprs: 17
; ScratchSize: 0
; MemoryBound: 0
; FloatMode: 240
; IeeeMode: 1
; LDSByteSize: 128 bytes/workgroup (compile time only)
; SGPRBlocks: 3
; VGPRBlocks: 2
; NumSGPRsForWavesPerEU: 28
; NumVGPRsForWavesPerEU: 17
; AccumOffset: 20
; Occupancy: 8
; WaveLimiterHint : 0
; COMPUTE_PGM_RSRC2:SCRATCH_EN: 0
; COMPUTE_PGM_RSRC2:USER_SGPR: 2
; COMPUTE_PGM_RSRC2:TRAP_HANDLER: 0
; COMPUTE_PGM_RSRC2:TGID_X_EN: 1
; COMPUTE_PGM_RSRC2:TGID_Y_EN: 1
; COMPUTE_PGM_RSRC2:TGID_Z_EN: 0
; COMPUTE_PGM_RSRC2:TIDIG_COMP_CNT: 0
; COMPUTE_PGM_RSRC3_GFX90A:ACCUM_OFFSET: 4
; COMPUTE_PGM_RSRC3_GFX90A:TG_SPLIT: 0
	.section	.text._ZL33flash_attn_stream_k_fixup_uniformILi128ELi2ELi16EEvPfPK15HIP_vector_typeIfLj2EEiiiiiiS1_IjLj3EES5_S5_,"axG",@progbits,_ZL33flash_attn_stream_k_fixup_uniformILi128ELi2ELi16EEvPfPK15HIP_vector_typeIfLj2EEiiiiiiS1_IjLj3EES5_S5_,comdat
	.globl	_ZL33flash_attn_stream_k_fixup_uniformILi128ELi2ELi16EEvPfPK15HIP_vector_typeIfLj2EEiiiiiiS1_IjLj3EES5_S5_ ; -- Begin function _ZL33flash_attn_stream_k_fixup_uniformILi128ELi2ELi16EEvPfPK15HIP_vector_typeIfLj2EEiiiiiiS1_IjLj3EES5_S5_
	.p2align	8
	.type	_ZL33flash_attn_stream_k_fixup_uniformILi128ELi2ELi16EEvPfPK15HIP_vector_typeIfLj2EEiiiiiiS1_IjLj3EES5_S5_,@function
_ZL33flash_attn_stream_k_fixup_uniformILi128ELi2ELi16EEvPfPK15HIP_vector_typeIfLj2EEiiiiiiS1_IjLj3EES5_S5_: ; @_ZL33flash_attn_stream_k_fixup_uniformILi128ELi2ELi16EEvPfPK15HIP_vector_typeIfLj2EEiiiiiiS1_IjLj3EES5_S5_
; %bb.0:
	s_load_dwordx8 s[8:15], s[0:1], 0x1c
	s_load_dwordx2 s[6:7], s[0:1], 0x10
	s_load_dwordx4 s[20:23], s[0:1], 0x3c
	s_waitcnt lgkmcnt(0)
	s_mul_hi_u32 s5, s11, s2
	s_add_i32 s5, s2, s5
	s_lshr_b32 s5, s5, s12
	s_mul_i32 s11, s5, s13
	s_sub_i32 s11, s2, s11
	s_mul_hi_u32 s12, s11, s14
	s_add_i32 s12, s11, s12
	s_lshr_b32 s16, s12, s15
	s_mul_i32 s12, s16, s20
	s_sub_i32 s11, s11, s12
	;; [unrolled: 5-line block ×3, first 2 shown]
	s_lshl_b32 s11, s12, 4
	s_lshl_b32 s12, s17, 1
	s_add_i32 s12, s12, s3
	s_cmp_lt_i32 s12, s6
	s_cselect_b64 s[12:13], -1, 0
	s_add_i32 s14, s11, s4
	s_cmp_lt_i32 s14, s9
	s_cselect_b64 s[14:15], -1, 0
	s_and_b64 s[12:13], s[12:13], s[14:15]
	s_andn2_b64 vcc, exec, s[12:13]
	s_cbranch_vccnz .LBB2_6
; %bb.1:
	s_load_dwordx4 s[12:15], s[0:1], 0x0
	s_mul_i32 s0, s5, s6
	s_add_i32 s0, s0, s3
	s_mul_i32 s0, s0, s7
	s_mul_i32 s16, s16, s9
	s_add_i32 s0, s0, s4
	s_add_i32 s0, s0, s16
	s_mul_i32 s1, s7, s17
	s_add_i32 s0, s0, s11
	s_lshl_b32 s1, s1, 8
	s_lshl_b32 s0, s0, 7
	s_add_i32 s1, s1, s0
	v_or_b32_e32 v4, s1, v0
	s_waitcnt lgkmcnt(0)
	v_mov_b32_e32 v2, s12
	v_mov_b32_e32 v3, s13
	v_ashrrev_i32_e32 v5, 31, v4
	v_lshl_add_u64 v[2:3], v[4:5], 2, v[2:3]
	global_load_dword v5, v[2:3], off
	s_mul_i32 s5, s10, s2
	s_lshl_b32 s11, s3, 4
	s_add_i32 s9, s5, s10
	s_add_i32 s0, s11, s4
	s_lshl_b32 s1, s9, 5
	s_add_i32 s0, s0, s1
	s_sub_i32 s0, s0, 32
	s_ashr_i32 s1, s0, 31
	s_lshl_b64 s[0:1], s[0:1], 3
	s_add_u32 s0, s14, s0
	s_addc_u32 s1, s15, s1
	s_load_dword s12, s[0:1], 0x4
	s_add_i32 s6, s9, -2
	s_cmp_lt_i32 s6, s5
	s_cbranch_scc1 .LBB2_4
; %bb.2:
	s_lshl_b32 s6, s8, 7
	s_ashr_i32 s7, s6, 31
	s_lshl_b64 s[6:7], s[6:7], 2
	s_add_u32 s6, s14, s6
	s_addc_u32 s7, s15, s7
	s_add_i32 s2, s2, 1
	s_load_dword s0, s[0:1], 0x0
	s_mul_i32 s1, s10, s2
	s_lshl_b32 s3, s3, 11
	s_lshl_b32 s10, s4, 7
	;; [unrolled: 1-line block ×3, first 2 shown]
	s_add_i32 s3, s10, s3
	s_lshl_b32 s1, s1, 5
	s_add_i32 s3, s3, s2
	s_add_i32 s1, s4, s1
	s_lshl_b32 s2, s8, 5
	s_add_i32 s1, s1, s2
	v_or_b32_e32 v0, s3, v0
	s_add_i32 s1, s1, s11
	s_add_i32 s9, s9, -1
	v_add_u32_e32 v0, 0xffffe000, v0
	s_sub_i32 s2, s1, 64
	s_waitcnt lgkmcnt(0)
	v_mov_b32_e32 v7, s0
	v_mov_b32_e32 v4, s12
	s_mov_b32 s4, 0x3fb8aa3b
	s_mov_b32 s8, 0xc2ce8ed0
	;; [unrolled: 1-line block ×3, first 2 shown]
	v_mov_b32_e32 v6, 0x7f800000
	s_mov_b32 s11, 0xc1a00000
.LBB2_3:                                ; =>This Inner Loop Header: Depth=1
	v_ashrrev_i32_e32 v1, 31, v0
	v_lshl_add_u64 v[8:9], v[0:1], 2, s[6:7]
	global_load_dword v9, v[8:9], off
	s_ashr_i32 s3, s2, 31
	s_lshl_b64 s[0:1], s[2:3], 3
	s_add_u32 s0, s14, s0
	s_addc_u32 s1, s15, s1
	s_load_dwordx2 s[0:1], s[0:1], 0x0
	v_max_f32_e32 v1, v7, v7
	s_add_i32 s9, s9, -1
	s_sub_i32 s2, s2, 32
	v_add_u32_e32 v0, 0xfffff000, v0
	s_waitcnt lgkmcnt(0)
	v_max_f32_e64 v10, s0, s0
	v_max_f32_e32 v1, v1, v10
	v_sub_f32_e32 v11, s0, v1
	v_sub_f32_e32 v10, v7, v1
	v_mul_f32_e32 v12, 0x3fb8aa3b, v11
	v_mov_b32_e32 v7, v1
	v_mul_f32_e32 v1, 0x3fb8aa3b, v10
	v_fma_f32 v15, v11, s4, -v12
	v_rndne_f32_e32 v16, v12
	v_fma_f32 v13, v10, s4, -v1
	v_rndne_f32_e32 v14, v1
	v_fmac_f32_e32 v15, 0x32a5705f, v11
	v_sub_f32_e32 v12, v12, v16
	v_fmac_f32_e32 v13, 0x32a5705f, v10
	v_sub_f32_e32 v1, v1, v14
	v_add_f32_e32 v12, v12, v15
	v_cvt_i32_f32_e32 v16, v16
	v_add_f32_e32 v1, v1, v13
	v_exp_f32_e32 v12, v12
	v_cvt_i32_f32_e32 v14, v14
	v_exp_f32_e32 v1, v1
	v_cmp_ngt_f32_e32 vcc, s8, v11
	v_ldexp_f32 v12, v12, v16
	v_mov_b32_e32 v8, s1
	v_ldexp_f32 v1, v1, v14
	v_cmp_ngt_f32_e64 s[0:1], s8, v10
	v_cndmask_b32_e32 v12, 0, v12, vcc
	v_cmp_nlt_f32_e32 vcc, s10, v11
	v_cndmask_b32_e64 v1, 0, v1, s[0:1]
	v_cmp_nlt_f32_e64 s[0:1], s10, v10
	v_cndmask_b32_e32 v12, v6, v12, vcc
	v_cmp_le_f32_e32 vcc, s11, v11
	v_cndmask_b32_e64 v1, v6, v1, s[0:1]
	v_cmp_le_f32_e64 s[0:1], s11, v10
	v_cndmask_b32_e32 v12, 0, v12, vcc
	s_cmp_le_i32 s9, s5
	v_cndmask_b32_e64 v10, 0, v1, s[0:1]
	s_waitcnt vmcnt(0)
	v_pk_mul_f32 v[8:9], v[8:9], v[12:13] op_sel_hi:[1,0]
	s_nop 0
	v_pk_fma_f32 v[4:5], v[4:5], v[10:11], v[8:9] op_sel_hi:[1,0,1]
	s_cbranch_scc0 .LBB2_3
	s_branch .LBB2_5
.LBB2_4:
	s_waitcnt lgkmcnt(0)
	v_mov_b32_e32 v4, s12
.LBB2_5:
	s_waitcnt vmcnt(0)
	v_div_scale_f32 v0, s[0:1], v4, v4, v5
	v_rcp_f32_e32 v1, v0
	v_div_scale_f32 v6, vcc, v5, v4, v5
	v_fma_f32 v7, -v0, v1, 1.0
	v_fmac_f32_e32 v1, v7, v1
	v_mul_f32_e32 v7, v6, v1
	v_fma_f32 v8, -v0, v7, v6
	v_fmac_f32_e32 v7, v8, v1
	v_fma_f32 v0, -v0, v7, v6
	v_div_fmas_f32 v0, v0, v1, v7
	v_div_fixup_f32 v0, v0, v4, v5
	global_store_dword v[2:3], v0, off
.LBB2_6:
	s_endpgm
	.section	.rodata,"a",@progbits
	.p2align	6, 0x0
	.amdhsa_kernel _ZL33flash_attn_stream_k_fixup_uniformILi128ELi2ELi16EEvPfPK15HIP_vector_typeIfLj2EEiiiiiiS1_IjLj3EES5_S5_
		.amdhsa_group_segment_fixed_size 0
		.amdhsa_private_segment_fixed_size 0
		.amdhsa_kernarg_size 76
		.amdhsa_user_sgpr_count 2
		.amdhsa_user_sgpr_dispatch_ptr 0
		.amdhsa_user_sgpr_queue_ptr 0
		.amdhsa_user_sgpr_kernarg_segment_ptr 1
		.amdhsa_user_sgpr_dispatch_id 0
		.amdhsa_user_sgpr_kernarg_preload_length 0
		.amdhsa_user_sgpr_kernarg_preload_offset 0
		.amdhsa_user_sgpr_private_segment_size 0
		.amdhsa_uses_dynamic_stack 0
		.amdhsa_enable_private_segment 0
		.amdhsa_system_sgpr_workgroup_id_x 1
		.amdhsa_system_sgpr_workgroup_id_y 1
		.amdhsa_system_sgpr_workgroup_id_z 1
		.amdhsa_system_sgpr_workgroup_info 0
		.amdhsa_system_vgpr_workitem_id 0
		.amdhsa_next_free_vgpr 17
		.amdhsa_next_free_sgpr 24
		.amdhsa_accum_offset 20
		.amdhsa_reserve_vcc 1
		.amdhsa_float_round_mode_32 0
		.amdhsa_float_round_mode_16_64 0
		.amdhsa_float_denorm_mode_32 3
		.amdhsa_float_denorm_mode_16_64 3
		.amdhsa_dx10_clamp 1
		.amdhsa_ieee_mode 1
		.amdhsa_fp16_overflow 0
		.amdhsa_tg_split 0
		.amdhsa_exception_fp_ieee_invalid_op 0
		.amdhsa_exception_fp_denorm_src 0
		.amdhsa_exception_fp_ieee_div_zero 0
		.amdhsa_exception_fp_ieee_overflow 0
		.amdhsa_exception_fp_ieee_underflow 0
		.amdhsa_exception_fp_ieee_inexact 0
		.amdhsa_exception_int_div_zero 0
	.end_amdhsa_kernel
	.section	.text._ZL33flash_attn_stream_k_fixup_uniformILi128ELi2ELi16EEvPfPK15HIP_vector_typeIfLj2EEiiiiiiS1_IjLj3EES5_S5_,"axG",@progbits,_ZL33flash_attn_stream_k_fixup_uniformILi128ELi2ELi16EEvPfPK15HIP_vector_typeIfLj2EEiiiiiiS1_IjLj3EES5_S5_,comdat
.Lfunc_end2:
	.size	_ZL33flash_attn_stream_k_fixup_uniformILi128ELi2ELi16EEvPfPK15HIP_vector_typeIfLj2EEiiiiiiS1_IjLj3EES5_S5_, .Lfunc_end2-_ZL33flash_attn_stream_k_fixup_uniformILi128ELi2ELi16EEvPfPK15HIP_vector_typeIfLj2EEiiiiiiS1_IjLj3EES5_S5_
                                        ; -- End function
	.set _ZL33flash_attn_stream_k_fixup_uniformILi128ELi2ELi16EEvPfPK15HIP_vector_typeIfLj2EEiiiiiiS1_IjLj3EES5_S5_.num_vgpr, 17
	.set _ZL33flash_attn_stream_k_fixup_uniformILi128ELi2ELi16EEvPfPK15HIP_vector_typeIfLj2EEiiiiiiS1_IjLj3EES5_S5_.num_agpr, 0
	.set _ZL33flash_attn_stream_k_fixup_uniformILi128ELi2ELi16EEvPfPK15HIP_vector_typeIfLj2EEiiiiiiS1_IjLj3EES5_S5_.numbered_sgpr, 24
	.set _ZL33flash_attn_stream_k_fixup_uniformILi128ELi2ELi16EEvPfPK15HIP_vector_typeIfLj2EEiiiiiiS1_IjLj3EES5_S5_.num_named_barrier, 0
	.set _ZL33flash_attn_stream_k_fixup_uniformILi128ELi2ELi16EEvPfPK15HIP_vector_typeIfLj2EEiiiiiiS1_IjLj3EES5_S5_.private_seg_size, 0
	.set _ZL33flash_attn_stream_k_fixup_uniformILi128ELi2ELi16EEvPfPK15HIP_vector_typeIfLj2EEiiiiiiS1_IjLj3EES5_S5_.uses_vcc, 1
	.set _ZL33flash_attn_stream_k_fixup_uniformILi128ELi2ELi16EEvPfPK15HIP_vector_typeIfLj2EEiiiiiiS1_IjLj3EES5_S5_.uses_flat_scratch, 0
	.set _ZL33flash_attn_stream_k_fixup_uniformILi128ELi2ELi16EEvPfPK15HIP_vector_typeIfLj2EEiiiiiiS1_IjLj3EES5_S5_.has_dyn_sized_stack, 0
	.set _ZL33flash_attn_stream_k_fixup_uniformILi128ELi2ELi16EEvPfPK15HIP_vector_typeIfLj2EEiiiiiiS1_IjLj3EES5_S5_.has_recursion, 0
	.set _ZL33flash_attn_stream_k_fixup_uniformILi128ELi2ELi16EEvPfPK15HIP_vector_typeIfLj2EEiiiiiiS1_IjLj3EES5_S5_.has_indirect_call, 0
	.section	.AMDGPU.csdata,"",@progbits
; Kernel info:
; codeLenInByte = 836
; TotalNumSgprs: 30
; NumVgprs: 17
; NumAgprs: 0
; TotalNumVgprs: 17
; ScratchSize: 0
; MemoryBound: 0
; FloatMode: 240
; IeeeMode: 1
; LDSByteSize: 0 bytes/workgroup (compile time only)
; SGPRBlocks: 3
; VGPRBlocks: 2
; NumSGPRsForWavesPerEU: 30
; NumVGPRsForWavesPerEU: 17
; AccumOffset: 20
; Occupancy: 8
; WaveLimiterHint : 0
; COMPUTE_PGM_RSRC2:SCRATCH_EN: 0
; COMPUTE_PGM_RSRC2:USER_SGPR: 2
; COMPUTE_PGM_RSRC2:TRAP_HANDLER: 0
; COMPUTE_PGM_RSRC2:TGID_X_EN: 1
; COMPUTE_PGM_RSRC2:TGID_Y_EN: 1
; COMPUTE_PGM_RSRC2:TGID_Z_EN: 1
; COMPUTE_PGM_RSRC2:TIDIG_COMP_CNT: 0
; COMPUTE_PGM_RSRC3_GFX90A:ACCUM_OFFSET: 4
; COMPUTE_PGM_RSRC3_GFX90A:TG_SPLIT: 0
	.section	.text._ZL33flash_attn_stream_k_fixup_generalILi128ELi2ELi16EEvPfPK15HIP_vector_typeIfLj2EEiiiiS1_IjLj3EES5_S5_S5_,"axG",@progbits,_ZL33flash_attn_stream_k_fixup_generalILi128ELi2ELi16EEvPfPK15HIP_vector_typeIfLj2EEiiiiS1_IjLj3EES5_S5_S5_,comdat
	.globl	_ZL33flash_attn_stream_k_fixup_generalILi128ELi2ELi16EEvPfPK15HIP_vector_typeIfLj2EEiiiiS1_IjLj3EES5_S5_S5_ ; -- Begin function _ZL33flash_attn_stream_k_fixup_generalILi128ELi2ELi16EEvPfPK15HIP_vector_typeIfLj2EEiiiiS1_IjLj3EES5_S5_S5_
	.p2align	8
	.type	_ZL33flash_attn_stream_k_fixup_generalILi128ELi2ELi16EEvPfPK15HIP_vector_typeIfLj2EEiiiiS1_IjLj3EES5_S5_S5_,@function
_ZL33flash_attn_stream_k_fixup_generalILi128ELi2ELi16EEvPfPK15HIP_vector_typeIfLj2EEiiiiS1_IjLj3EES5_S5_S5_: ; @_ZL33flash_attn_stream_k_fixup_generalILi128ELi2ELi16EEvPfPK15HIP_vector_typeIfLj2EEiiiiS1_IjLj3EES5_S5_S5_
; %bb.0:
	s_load_dwordx4 s[8:11], s[0:1], 0x10
	s_load_dword s22, s[0:1], 0x50
	s_mov_b32 s12, 0
	s_waitcnt lgkmcnt(0)
	s_mul_hi_i32 s13, s11, s2
	s_cmp_lg_u64 s[12:13], 0
	s_mul_i32 s5, s11, s2
	s_cbranch_scc0 .LBB3_20
; %bb.1:
	s_add_u32 s6, s22, 0
	s_addc_u32 s7, 0, 0
	s_xor_b64 s[6:7], s[6:7], 0
	v_cvt_f32_u32_e32 v1, s6
	v_cvt_f32_u32_e32 v2, s7
	s_sub_u32 s12, 0, s6
	s_subb_u32 s18, 0, s7
	v_fmamk_f32 v1, v2, 0x4f800000, v1
	v_rcp_f32_e32 v1, v1
	s_nop 0
	v_mul_f32_e32 v1, 0x5f7ffffc, v1
	v_mul_f32_e32 v2, 0x2f800000, v1
	v_trunc_f32_e32 v2, v2
	v_fmamk_f32 v1, v2, 0xcf800000, v1
	v_cvt_u32_f32_e32 v2, v2
	v_cvt_u32_f32_e32 v1, v1
	v_readfirstlane_b32 s19, v2
	v_readfirstlane_b32 s14, v1
	s_mul_i32 s15, s12, s19
	s_mul_hi_u32 s21, s12, s14
	s_mul_i32 s20, s18, s14
	s_add_i32 s15, s21, s15
	s_add_i32 s15, s15, s20
	s_mul_i32 s23, s12, s14
	s_mul_i32 s21, s14, s15
	s_mul_hi_u32 s24, s14, s23
	s_mul_hi_u32 s20, s14, s15
	s_add_u32 s21, s24, s21
	s_addc_u32 s20, 0, s20
	s_mul_hi_u32 s25, s19, s23
	s_mul_i32 s23, s19, s23
	s_add_u32 s21, s21, s23
	s_mul_hi_u32 s24, s19, s15
	s_addc_u32 s20, s20, s25
	s_addc_u32 s21, s24, 0
	s_mul_i32 s15, s19, s15
	s_add_u32 s15, s20, s15
	s_addc_u32 s20, 0, s21
	s_add_u32 s21, s14, s15
	s_cselect_b64 s[14:15], -1, 0
	s_cmp_lg_u64 s[14:15], 0
	s_addc_u32 s19, s19, s20
	s_mul_i32 s14, s12, s19
	s_mul_hi_u32 s15, s12, s21
	s_add_i32 s14, s15, s14
	s_mul_i32 s18, s18, s21
	s_add_i32 s14, s14, s18
	s_mul_i32 s12, s12, s21
	s_mul_hi_u32 s18, s19, s12
	s_mul_i32 s20, s19, s12
	s_mul_i32 s24, s21, s14
	s_mul_hi_u32 s12, s21, s12
	s_mul_hi_u32 s23, s21, s14
	s_add_u32 s12, s12, s24
	s_addc_u32 s23, 0, s23
	s_add_u32 s12, s12, s20
	s_mul_hi_u32 s15, s19, s14
	s_addc_u32 s12, s23, s18
	s_addc_u32 s15, s15, 0
	s_mul_i32 s14, s19, s14
	s_add_u32 s12, s12, s14
	s_addc_u32 s18, 0, s15
	s_add_u32 s20, s21, s12
	s_cselect_b64 s[14:15], -1, 0
	s_cmp_lg_u64 s[14:15], 0
	s_addc_u32 s18, s19, s18
	s_ashr_i32 s14, s13, 31
	s_add_u32 s12, s5, s14
	s_mov_b32 s15, s14
	s_addc_u32 s13, s13, s14
	s_xor_b64 s[12:13], s[12:13], s[14:15]
	s_mul_i32 s21, s12, s18
	s_mul_hi_u32 s23, s12, s20
	s_mul_hi_u32 s19, s12, s18
	s_add_u32 s21, s23, s21
	s_addc_u32 s19, 0, s19
	s_mul_hi_u32 s24, s13, s20
	s_mul_i32 s20, s13, s20
	s_add_u32 s20, s21, s20
	s_mul_hi_u32 s23, s13, s18
	s_addc_u32 s19, s19, s24
	s_addc_u32 s20, s23, 0
	s_mul_i32 s18, s13, s18
	s_add_u32 s23, s19, s18
	s_addc_u32 s24, 0, s20
	s_mul_i32 s18, s6, s24
	s_mul_hi_u32 s19, s6, s23
	s_add_i32 s18, s19, s18
	s_mul_i32 s19, s7, s23
	s_add_i32 s25, s18, s19
	s_sub_i32 s20, s13, s25
	s_mul_i32 s18, s6, s23
	s_sub_u32 s12, s12, s18
	s_cselect_b64 s[18:19], -1, 0
	s_cmp_lg_u64 s[18:19], 0
	s_subb_u32 s26, s20, s7
	s_sub_u32 s27, s12, s6
	s_cselect_b64 s[20:21], -1, 0
	s_cmp_lg_u64 s[20:21], 0
	s_subb_u32 s20, s26, 0
	s_cmp_ge_u32 s20, s7
	s_cselect_b32 s21, -1, 0
	s_cmp_ge_u32 s27, s6
	s_cselect_b32 s26, -1, 0
	s_cmp_eq_u32 s20, s7
	s_cselect_b32 s20, s26, s21
	s_add_u32 s21, s23, 1
	s_addc_u32 s26, s24, 0
	s_add_u32 s27, s23, 2
	s_addc_u32 s28, s24, 0
	s_cmp_lg_u32 s20, 0
	s_cselect_b32 s20, s27, s21
	s_cselect_b32 s21, s28, s26
	s_cmp_lg_u64 s[18:19], 0
	s_subb_u32 s13, s13, s25
	s_cmp_ge_u32 s13, s7
	s_cselect_b32 s18, -1, 0
	s_cmp_ge_u32 s12, s6
	s_cselect_b32 s6, -1, 0
	s_cmp_eq_u32 s13, s7
	s_cselect_b32 s6, s6, s18
	s_cmp_lg_u32 s6, 0
	s_cselect_b32 s7, s21, s24
	s_cselect_b32 s6, s20, s23
	s_xor_b64 s[12:13], s[14:15], 0
	s_xor_b64 s[6:7], s[6:7], s[12:13]
	s_sub_u32 s6, s6, s12
	s_load_dwordx4 s[12:15], s[0:1], 0x44
	s_cbranch_execnz .LBB3_3
.LBB3_2:
	v_cvt_f32_u32_e32 v1, s22
	s_sub_i32 s6, 0, s22
	v_rcp_iflag_f32_e32 v1, v1
	s_nop 0
	v_mul_f32_e32 v1, 0x4f7ffffe, v1
	v_cvt_u32_f32_e32 v1, v1
	s_nop 0
	v_readfirstlane_b32 s7, v1
	s_mul_i32 s6, s6, s7
	s_mul_hi_u32 s6, s7, s6
	s_add_i32 s7, s7, s6
	s_mul_hi_u32 s6, s5, s7
	s_waitcnt lgkmcnt(0)
	s_mul_i32 s15, s6, s22
	s_sub_i32 s5, s5, s15
	s_add_i32 s7, s6, 1
	s_sub_i32 s15, s5, s22
	s_cmp_ge_u32 s5, s22
	s_cselect_b32 s6, s7, s6
	s_cselect_b32 s5, s15, s5
	s_add_i32 s7, s6, 1
	s_cmp_ge_u32 s5, s22
	s_cselect_b32 s6, s7, s6
.LBB3_3:
	s_add_i32 s5, s2, 1
	s_mul_hi_i32 s21, s11, s5
	s_mov_b32 s20, 0
	s_cmp_lg_u64 s[20:21], 0
	s_mul_i32 s5, s11, s5
	s_cbranch_scc0 .LBB3_21
; %bb.4:
	s_add_u32 s16, s22, 0
	s_addc_u32 s17, 0, 0
	s_xor_b64 s[18:19], s[16:17], 0
	v_cvt_f32_u32_e32 v1, s18
	v_cvt_f32_u32_e32 v2, s19
	s_sub_u32 s7, 0, s18
	s_waitcnt lgkmcnt(0)
	s_subb_u32 s15, 0, s19
	v_fmamk_f32 v1, v2, 0x4f800000, v1
	v_rcp_f32_e32 v1, v1
	s_nop 0
	v_mul_f32_e32 v1, 0x5f7ffffc, v1
	v_mul_f32_e32 v2, 0x2f800000, v1
	v_trunc_f32_e32 v2, v2
	v_fmamk_f32 v1, v2, 0xcf800000, v1
	v_cvt_u32_f32_e32 v2, v2
	v_cvt_u32_f32_e32 v1, v1
	v_readfirstlane_b32 s20, v2
	v_readfirstlane_b32 s23, v1
	s_mul_i32 s24, s7, s20
	s_mul_hi_u32 s26, s7, s23
	s_mul_i32 s25, s15, s23
	s_add_i32 s24, s26, s24
	s_add_i32 s24, s24, s25
	s_mul_i32 s27, s7, s23
	s_mul_i32 s26, s23, s24
	s_mul_hi_u32 s28, s23, s27
	s_mul_hi_u32 s25, s23, s24
	s_add_u32 s26, s28, s26
	s_addc_u32 s25, 0, s25
	s_mul_hi_u32 s29, s20, s27
	s_mul_i32 s27, s20, s27
	s_add_u32 s26, s26, s27
	s_mul_hi_u32 s28, s20, s24
	s_addc_u32 s25, s25, s29
	s_addc_u32 s26, s28, 0
	s_mul_i32 s24, s20, s24
	s_add_u32 s24, s25, s24
	s_addc_u32 s26, 0, s26
	s_add_u32 s23, s23, s24
	s_cselect_b64 s[24:25], -1, 0
	s_cmp_lg_u64 s[24:25], 0
	s_addc_u32 s20, s20, s26
	s_mul_i32 s24, s7, s20
	s_mul_hi_u32 s25, s7, s23
	s_add_i32 s24, s25, s24
	s_mul_i32 s15, s15, s23
	s_add_i32 s24, s24, s15
	s_mul_i32 s7, s7, s23
	s_mul_hi_u32 s25, s20, s7
	s_mul_i32 s26, s20, s7
	s_mul_i32 s28, s23, s24
	s_mul_hi_u32 s7, s23, s7
	s_mul_hi_u32 s27, s23, s24
	s_add_u32 s7, s7, s28
	s_addc_u32 s27, 0, s27
	s_add_u32 s7, s7, s26
	s_mul_hi_u32 s15, s20, s24
	s_addc_u32 s7, s27, s25
	s_addc_u32 s15, s15, 0
	s_mul_i32 s24, s20, s24
	s_add_u32 s7, s7, s24
	s_addc_u32 s15, 0, s15
	s_add_u32 s7, s23, s7
	s_cselect_b64 s[24:25], -1, 0
	s_cmp_lg_u64 s[24:25], 0
	s_addc_u32 s15, s20, s15
	s_ashr_i32 s24, s21, 31
	s_add_u32 s20, s5, s24
	s_mov_b32 s25, s24
	s_addc_u32 s21, s21, s24
	s_xor_b64 s[20:21], s[20:21], s[24:25]
	s_mul_i32 s26, s20, s15
	s_mul_hi_u32 s27, s20, s7
	s_mul_hi_u32 s23, s20, s15
	s_add_u32 s26, s27, s26
	s_addc_u32 s23, 0, s23
	s_mul_hi_u32 s28, s21, s7
	s_mul_i32 s7, s21, s7
	s_add_u32 s7, s26, s7
	s_mul_hi_u32 s27, s21, s15
	s_addc_u32 s7, s23, s28
	s_addc_u32 s23, s27, 0
	s_mul_i32 s15, s21, s15
	s_add_u32 s7, s7, s15
	s_addc_u32 s15, 0, s23
	s_mul_i32 s23, s18, s15
	s_mul_hi_u32 s26, s18, s7
	s_add_i32 s23, s26, s23
	s_mul_i32 s26, s19, s7
	s_add_i32 s23, s23, s26
	s_sub_i32 s28, s21, s23
	s_mul_i32 s26, s18, s7
	s_sub_u32 s20, s20, s26
	s_cselect_b64 s[26:27], -1, 0
	s_cmp_lg_u64 s[26:27], 0
	s_subb_u32 s30, s28, s19
	s_sub_u32 s31, s20, s18
	s_cselect_b64 s[28:29], -1, 0
	s_cmp_lg_u64 s[28:29], 0
	s_subb_u32 s28, s30, 0
	s_cmp_ge_u32 s28, s19
	s_cselect_b32 s29, -1, 0
	s_cmp_ge_u32 s31, s18
	s_cselect_b32 s30, -1, 0
	s_cmp_eq_u32 s28, s19
	s_cselect_b32 s28, s30, s29
	s_add_u32 s29, s7, 1
	s_addc_u32 s30, s15, 0
	s_add_u32 s31, s7, 2
	s_addc_u32 s33, s15, 0
	s_cmp_lg_u32 s28, 0
	s_cselect_b32 s28, s31, s29
	s_cselect_b32 s29, s33, s30
	s_cmp_lg_u64 s[26:27], 0
	s_subb_u32 s21, s21, s23
	s_cmp_ge_u32 s21, s19
	s_cselect_b32 s23, -1, 0
	s_cmp_ge_u32 s20, s18
	s_cselect_b32 s18, -1, 0
	s_cmp_eq_u32 s21, s19
	s_cselect_b32 s18, s18, s23
	s_cmp_lg_u32 s18, 0
	s_cselect_b32 s19, s29, s15
	s_cselect_b32 s18, s28, s7
	s_xor_b64 s[20:21], s[24:25], 0
	s_xor_b64 s[18:19], s[18:19], s[20:21]
	s_sub_u32 s18, s18, s20
	s_cbranch_execnz .LBB3_6
.LBB3_5:
	v_cvt_f32_u32_e32 v1, s22
	s_sub_i32 s7, 0, s22
	v_rcp_iflag_f32_e32 v1, v1
	s_nop 0
	v_mul_f32_e32 v1, 0x4f7ffffe, v1
	v_cvt_u32_f32_e32 v1, v1
	s_waitcnt lgkmcnt(0)
	v_readfirstlane_b32 s15, v1
	s_mul_i32 s7, s7, s15
	s_mul_hi_u32 s7, s15, s7
	s_add_i32 s15, s15, s7
	s_mul_hi_u32 s7, s5, s15
	s_mul_i32 s16, s7, s22
	s_sub_i32 s5, s5, s16
	s_add_i32 s15, s7, 1
	s_sub_i32 s16, s5, s22
	s_cmp_ge_u32 s5, s22
	s_cselect_b32 s7, s15, s7
	s_cselect_b32 s5, s16, s5
	s_add_i32 s15, s7, 1
	s_cmp_ge_u32 s5, s22
	s_cselect_b32 s18, s15, s7
.LBB3_6:
	s_cmp_eq_u32 s6, s18
	s_waitcnt lgkmcnt(0)
	s_mul_hi_u32 s5, s6, s12
	s_cselect_b64 s[16:17], -1, 0
	s_add_i32 s5, s5, s6
	s_lshr_b32 s7, s5, s13
	s_mul_i32 s5, s7, s14
	s_cmp_eq_u32 s5, s6
	s_mul_hi_u32 s5, s18, s12
	s_cselect_b64 s[20:21], -1, 0
	s_add_i32 s5, s5, s18
	s_lshr_b32 s5, s5, s13
	s_cmp_eq_u32 s7, s5
	s_mul_i32 s5, s5, s14
	s_cselect_b64 s[24:25], -1, 0
	s_cmp_lg_u32 s5, s18
	s_cselect_b64 s[18:19], -1, 0
	s_and_b64 s[18:19], s[24:25], s[18:19]
	s_or_b64 s[16:17], s[16:17], s[20:21]
	s_or_b64 s[16:17], s[16:17], s[18:19]
	s_and_b64 vcc, exec, s[16:17]
	s_cbranch_vccnz .LBB3_23
; %bb.7:
	s_load_dwordx8 s[24:31], s[0:1], 0x20
	s_load_dword s15, s[0:1], 0x40
	s_waitcnt lgkmcnt(0)
	s_mul_hi_u32 s5, s6, s24
	s_add_i32 s5, s5, s6
	s_lshr_b32 s5, s5, s25
	s_mul_i32 s16, s5, s26
	s_sub_i32 s16, s6, s16
	s_mul_hi_u32 s17, s16, s27
	s_add_i32 s17, s16, s17
	s_lshr_b32 s20, s17, s28
	s_mul_i32 s17, s20, s29
	s_sub_i32 s16, s16, s17
	;; [unrolled: 5-line block ×3, first 2 shown]
	s_mul_hi_u32 s16, s15, s12
	s_add_i32 s15, s15, s16
	s_lshr_b32 s23, s15, s13
	s_lshl_b32 s15, s23, 1
	s_lshl_b32 s21, s17, 4
	s_add_i32 s15, s15, s3
	s_cmp_lt_i32 s15, s8
	s_cselect_b64 s[16:17], -1, 0
	s_add_i32 s15, s21, s4
	s_cmp_lt_i32 s15, s10
	s_cselect_b64 s[18:19], -1, 0
	s_and_b64 s[16:17], s[16:17], s[18:19]
	s_andn2_b64 vcc, exec, s[16:17]
	s_cbranch_vccnz .LBB3_23
; %bb.8:
	s_load_dwordx4 s[16:19], s[0:1], 0x0
	s_mov_b32 s0, 0
	s_lshl_b32 s15, s3, 4
	s_lshl_b32 s24, s22, 7
	s_mov_b32 s25, s0
	s_add_i32 s15, s15, s4
	s_waitcnt lgkmcnt(0)
	v_mov_b32_e32 v2, s16
	v_mov_b32_e32 v3, s17
	s_lshl_b64 s[16:17], s[24:25], 2
	s_add_u32 s16, s18, s16
	s_mul_i32 s1, s5, s8
	s_addc_u32 s17, s19, s17
	s_add_i32 s1, s1, s3
	s_mul_i32 s1, s1, s9
	s_mul_i32 s20, s20, s10
	s_add_i32 s1, s1, s4
	s_add_i32 s1, s1, s20
	s_mul_i32 s5, s9, s23
	s_add_i32 s1, s1, s21
	s_lshl_b32 s5, s5, 8
	s_lshl_b32 s1, s1, 7
	s_add_i32 s5, s5, s1
	v_or_b32_e32 v4, s5, v0
	v_ashrrev_i32_e32 v5, 31, v4
	v_lshl_add_u64 v[2:3], v[4:5], 2, v[2:3]
	global_load_dword v1, v[2:3], off
	v_cvt_f32_u32_e32 v4, s22
	s_lshl_b32 s1, s2, 5
	s_add_i32 s4, s15, s1
	s_ashr_i32 s5, s4, 31
	s_lshl_b64 s[4:5], s[4:5], 3
	v_rcp_iflag_f32_e32 v4, v4
	s_add_u32 s4, s18, s4
	s_addc_u32 s5, s19, s5
	s_load_dwordx2 s[4:5], s[4:5], 0x0
	v_mul_f32_e32 v4, 0x4f7ffffe, v4
	v_cvt_u32_f32_e32 v7, v4
	s_add_i32 s24, s2, -1
	v_lshl_or_b32 v6, s15, 7, v0
	s_waitcnt lgkmcnt(0)
	v_mov_b32_e32 v0, s5
	v_mov_b32_e32 v9, s4
	s_mov_b32 s10, 0x3fb8aa3b
	s_mov_b32 s20, 0xc2ce8ed0
	;; [unrolled: 1-line block ×4, first 2 shown]
	v_mov_b32_e32 v8, 0x7f800000
	s_mul_hi_i32 s1, s24, s11
	s_cmp_lg_u64 s[0:1], 0
	s_mul_i32 s8, s24, s11
	s_cbranch_scc0 .LBB3_19
.LBB3_9:
	s_add_u32 s2, s22, 0
	s_addc_u32 s3, 0, 0
	s_xor_b64 s[2:3], s[2:3], 0
	v_cvt_f32_u32_e32 v4, s2
	v_cvt_f32_u32_e32 v5, s3
	s_sub_u32 s9, 0, s2
	s_subb_u32 s25, 0, s3
	v_fmac_f32_e32 v4, 0x4f800000, v5
	v_rcp_f32_e32 v4, v4
	s_nop 0
	v_mul_f32_e32 v4, 0x5f7ffffc, v4
	v_mul_f32_e32 v5, 0x2f800000, v4
	v_trunc_f32_e32 v5, v5
	v_fmac_f32_e32 v4, 0xcf800000, v5
	v_cvt_u32_f32_e32 v5, v5
	v_cvt_u32_f32_e32 v4, v4
	v_readfirstlane_b32 s26, v5
	v_readfirstlane_b32 s4, v4
	s_mul_i32 s5, s9, s26
	s_mul_hi_u32 s28, s9, s4
	s_mul_i32 s27, s25, s4
	s_add_i32 s5, s28, s5
	s_mul_i32 s29, s9, s4
	s_add_i32 s5, s5, s27
	s_mul_i32 s28, s4, s5
	s_mul_hi_u32 s30, s4, s29
	s_mul_hi_u32 s27, s4, s5
	s_add_u32 s28, s30, s28
	s_addc_u32 s27, 0, s27
	s_mul_hi_u32 s31, s26, s29
	s_mul_i32 s29, s26, s29
	s_add_u32 s28, s28, s29
	s_mul_hi_u32 s30, s26, s5
	s_addc_u32 s27, s27, s31
	s_addc_u32 s28, s30, 0
	s_mul_i32 s5, s26, s5
	s_add_u32 s5, s27, s5
	s_addc_u32 s27, 0, s28
	s_add_u32 s28, s4, s5
	s_cselect_b64 s[4:5], -1, 0
	s_cmp_lg_u64 s[4:5], 0
	s_addc_u32 s26, s26, s27
	s_mul_i32 s4, s9, s26
	s_mul_hi_u32 s5, s9, s28
	s_add_i32 s4, s5, s4
	s_mul_i32 s25, s25, s28
	s_add_i32 s4, s4, s25
	s_mul_i32 s9, s9, s28
	s_mul_hi_u32 s25, s26, s9
	s_mul_i32 s27, s26, s9
	s_mul_i32 s30, s28, s4
	s_mul_hi_u32 s9, s28, s9
	s_mul_hi_u32 s29, s28, s4
	s_add_u32 s9, s9, s30
	s_addc_u32 s29, 0, s29
	s_add_u32 s9, s9, s27
	s_mul_hi_u32 s5, s26, s4
	s_addc_u32 s9, s29, s25
	s_addc_u32 s5, s5, 0
	s_mul_i32 s4, s26, s4
	s_add_u32 s4, s9, s4
	s_addc_u32 s9, 0, s5
	s_add_u32 s25, s28, s4
	s_cselect_b64 s[4:5], -1, 0
	s_cmp_lg_u64 s[4:5], 0
	s_addc_u32 s9, s26, s9
	s_ashr_i32 s4, s1, 31
	s_add_u32 s26, s8, s4
	s_mov_b32 s5, s4
	s_addc_u32 s27, s1, s4
	s_xor_b64 s[26:27], s[26:27], s[4:5]
	s_mul_i32 s28, s26, s9
	s_mul_hi_u32 s29, s26, s25
	s_mul_hi_u32 s1, s26, s9
	s_add_u32 s28, s29, s28
	s_addc_u32 s1, 0, s1
	s_mul_hi_u32 s30, s27, s25
	s_mul_i32 s25, s27, s25
	s_add_u32 s25, s28, s25
	s_mul_hi_u32 s29, s27, s9
	s_addc_u32 s1, s1, s30
	s_addc_u32 s25, s29, 0
	s_mul_i32 s9, s27, s9
	s_add_u32 s1, s1, s9
	s_addc_u32 s9, 0, s25
	s_mul_i32 s25, s2, s9
	s_mul_hi_u32 s28, s2, s1
	s_add_i32 s25, s28, s25
	s_mul_i32 s28, s3, s1
	s_add_i32 s25, s25, s28
	s_sub_i32 s30, s27, s25
	s_mul_i32 s28, s2, s1
	s_sub_u32 s26, s26, s28
	s_cselect_b64 s[28:29], -1, 0
	s_cmp_lg_u64 s[28:29], 0
	s_subb_u32 s33, s30, s3
	s_sub_u32 s34, s26, s2
	s_cselect_b64 s[30:31], -1, 0
	s_cmp_lg_u64 s[30:31], 0
	s_subb_u32 s30, s33, 0
	s_cmp_ge_u32 s30, s3
	s_cselect_b32 s31, -1, 0
	s_cmp_ge_u32 s34, s2
	s_cselect_b32 s33, -1, 0
	s_cmp_eq_u32 s30, s3
	s_cselect_b32 s30, s33, s31
	s_add_u32 s31, s1, 1
	s_addc_u32 s33, s9, 0
	s_add_u32 s34, s1, 2
	s_addc_u32 s35, s9, 0
	s_cmp_lg_u32 s30, 0
	s_cselect_b32 s30, s34, s31
	s_cselect_b32 s31, s35, s33
	s_cmp_lg_u64 s[28:29], 0
	s_subb_u32 s25, s27, s25
	s_cmp_ge_u32 s25, s3
	s_cselect_b32 s27, -1, 0
	s_cmp_ge_u32 s26, s2
	s_cselect_b32 s2, -1, 0
	s_cmp_eq_u32 s25, s3
	s_cselect_b32 s2, s2, s27
	s_cmp_lg_u32 s2, 0
	s_cselect_b32 s3, s31, s9
	s_cselect_b32 s2, s30, s1
	s_xor_b64 s[4:5], s[4:5], 0
	s_xor_b64 s[2:3], s[2:3], s[4:5]
	s_sub_u32 s4, s2, s4
	s_cbranch_execnz .LBB3_11
.LBB3_10:
	s_sub_i32 s1, 0, s22
	v_readfirstlane_b32 s2, v7
	s_mul_i32 s1, s1, s2
	s_mul_hi_u32 s1, s2, s1
	s_add_i32 s2, s2, s1
	s_mul_hi_u32 s1, s8, s2
	s_mul_i32 s3, s1, s22
	s_sub_i32 s3, s8, s3
	s_add_i32 s2, s1, 1
	s_sub_i32 s4, s3, s22
	s_cmp_ge_u32 s3, s22
	s_cselect_b32 s1, s2, s1
	s_cselect_b32 s3, s4, s3
	s_add_i32 s2, s1, 1
	s_cmp_ge_u32 s3, s22
	s_cselect_b32 s4, s2, s1
.LBB3_11:
	s_cmp_lg_u32 s6, s4
	s_cbranch_scc0 .LBB3_15
; %bb.12:
	s_add_i32 s1, s24, s22
	s_lshl_b32 s1, s1, 5
	s_add_i32 s2, s1, s15
	s_mov_b32 s3, s0
	s_lshl_b64 s[2:3], s[2:3], 3
	s_add_u32 s8, s18, s2
	s_mul_hi_u32 s1, s4, s12
	s_addc_u32 s9, s19, s3
	s_add_i32 s1, s1, s4
	s_lshr_b32 s1, s1, s13
	s_mul_i32 s2, s1, s14
	s_cmp_eq_u32 s2, s4
	s_cselect_b64 s[2:3], -1, 0
	s_cmp_lt_u32 s1, s7
	s_cselect_b64 s[26:27], -1, 0
	s_or_b64 s[26:27], s[26:27], s[2:3]
	s_mov_b64 s[2:3], -1
	s_and_b64 vcc, exec, s[26:27]
	s_mov_b32 s1, s24
	s_mov_b32 s25, s6
	s_cbranch_vccnz .LBB3_14
; %bb.13:
	s_add_i32 s1, s24, -1
	s_mov_b64 s[2:3], 0
	s_mov_b32 s25, s4
.LBB3_14:
	v_lshl_add_u32 v4, s24, 12, v6
	v_ashrrev_i32_e32 v5, 31, v4
	v_lshl_add_u64 v[4:5], v[4:5], 2, s[16:17]
	global_load_dword v5, v[4:5], off
	s_load_dwordx2 s[4:5], s[8:9], 0x0
	v_max_f32_e32 v4, v9, v9
	s_waitcnt lgkmcnt(0)
	v_max_f32_e64 v10, s4, s4
	v_max_f32_e32 v10, v4, v10
	v_sub_f32_e32 v11, v9, v10
	v_sub_f32_e32 v13, s4, v10
	v_mul_f32_e32 v4, 0x3fb8aa3b, v11
	v_mul_f32_e32 v12, 0x3fb8aa3b, v13
	v_fma_f32 v14, v11, s10, -v4
	v_rndne_f32_e32 v15, v4
	v_fma_f32 v16, v13, s10, -v12
	v_rndne_f32_e32 v17, v12
	v_fmac_f32_e32 v14, 0x32a5705f, v11
	v_sub_f32_e32 v4, v4, v15
	v_fmac_f32_e32 v16, 0x32a5705f, v13
	v_sub_f32_e32 v12, v12, v17
	v_add_f32_e32 v4, v4, v14
	v_cvt_i32_f32_e32 v15, v15
	v_add_f32_e32 v12, v12, v16
	v_exp_f32_e32 v14, v4
	v_cvt_i32_f32_e32 v17, v17
	v_exp_f32_e32 v12, v12
	v_cmp_ngt_f32_e32 vcc, s20, v11
	v_ldexp_f32 v14, v14, v15
	v_mov_b32_e32 v4, s5
	v_ldexp_f32 v12, v12, v17
	v_cndmask_b32_e32 v14, 0, v14, vcc
	v_cmp_ngt_f32_e32 vcc, s20, v13
	s_nop 1
	v_cndmask_b32_e32 v12, 0, v12, vcc
	v_cmp_nlt_f32_e32 vcc, s21, v11
	s_nop 1
	v_cndmask_b32_e32 v14, v8, v14, vcc
	v_cmp_nlt_f32_e32 vcc, s21, v13
	s_nop 1
	v_cndmask_b32_e32 v15, v8, v12, vcc
	v_cmp_le_f32_e32 vcc, s23, v11
	s_nop 1
	v_cndmask_b32_e32 v12, 0, v14, vcc
	v_cmp_le_f32_e32 vcc, s23, v13
	s_nop 1
	v_cndmask_b32_e32 v14, 0, v15, vcc
	s_waitcnt vmcnt(0)
	v_pk_mul_f32 v[4:5], v[4:5], v[14:15] op_sel_hi:[1,0]
	s_nop 0
	v_pk_fma_f32 v[4:5], v[0:1], v[12:13], v[4:5] op_sel_hi:[1,0,1]
	s_cbranch_execz .LBB3_16
	s_branch .LBB3_17
.LBB3_15:
                                        ; implicit-def: $vgpr4_vgpr5
                                        ; implicit-def: $sgpr2_sgpr3
                                        ; implicit-def: $vgpr10
                                        ; implicit-def: $sgpr1
                                        ; implicit-def: $sgpr25
.LBB3_16:
	s_add_i32 s1, s24, -1
	s_mov_b64 s[2:3], 0
	s_mov_b32 s25, s6
	v_mov_b32_e32 v10, v9
	s_waitcnt vmcnt(0)
	v_mov_b64_e32 v[4:5], v[0:1]
.LBB3_17:
	s_andn2_b64 vcc, exec, s[2:3]
	s_cbranch_vccz .LBB3_22
; %bb.18:
	s_mov_b32 s6, s25
	s_mov_b32 s24, s1
	v_mov_b32_e32 v9, v10
	s_waitcnt vmcnt(0)
	v_mov_b64_e32 v[0:1], v[4:5]
	s_mul_hi_i32 s1, s24, s11
	s_cmp_lg_u64 s[0:1], 0
	s_mul_i32 s8, s24, s11
	s_cbranch_scc1 .LBB3_9
.LBB3_19:
                                        ; implicit-def: $sgpr4_sgpr5
	s_branch .LBB3_10
.LBB3_20:
                                        ; implicit-def: $sgpr6_sgpr7
	s_load_dwordx4 s[12:15], s[0:1], 0x44
	s_branch .LBB3_2
.LBB3_21:
                                        ; implicit-def: $sgpr18_sgpr19
	s_branch .LBB3_5
.LBB3_22:
	v_div_scale_f32 v0, s[0:1], v4, v4, v5
	s_waitcnt vmcnt(0)
	v_rcp_f32_e32 v1, v0
	v_div_scale_f32 v6, vcc, v5, v4, v5
	v_fma_f32 v7, -v0, v1, 1.0
	v_fmac_f32_e32 v1, v7, v1
	v_mul_f32_e32 v7, v6, v1
	v_fma_f32 v8, -v0, v7, v6
	v_fmac_f32_e32 v7, v8, v1
	v_fma_f32 v0, -v0, v7, v6
	v_div_fmas_f32 v0, v0, v1, v7
	v_div_fixup_f32 v0, v0, v4, v5
	global_store_dword v[2:3], v0, off
.LBB3_23:
	s_endpgm
	.section	.rodata,"a",@progbits
	.p2align	6, 0x0
	.amdhsa_kernel _ZL33flash_attn_stream_k_fixup_generalILi128ELi2ELi16EEvPfPK15HIP_vector_typeIfLj2EEiiiiS1_IjLj3EES5_S5_S5_
		.amdhsa_group_segment_fixed_size 0
		.amdhsa_private_segment_fixed_size 0
		.amdhsa_kernarg_size 336
		.amdhsa_user_sgpr_count 2
		.amdhsa_user_sgpr_dispatch_ptr 0
		.amdhsa_user_sgpr_queue_ptr 0
		.amdhsa_user_sgpr_kernarg_segment_ptr 1
		.amdhsa_user_sgpr_dispatch_id 0
		.amdhsa_user_sgpr_kernarg_preload_length 0
		.amdhsa_user_sgpr_kernarg_preload_offset 0
		.amdhsa_user_sgpr_private_segment_size 0
		.amdhsa_uses_dynamic_stack 0
		.amdhsa_enable_private_segment 0
		.amdhsa_system_sgpr_workgroup_id_x 1
		.amdhsa_system_sgpr_workgroup_id_y 1
		.amdhsa_system_sgpr_workgroup_id_z 1
		.amdhsa_system_sgpr_workgroup_info 0
		.amdhsa_system_vgpr_workitem_id 0
		.amdhsa_next_free_vgpr 18
		.amdhsa_next_free_sgpr 36
		.amdhsa_accum_offset 20
		.amdhsa_reserve_vcc 1
		.amdhsa_float_round_mode_32 0
		.amdhsa_float_round_mode_16_64 0
		.amdhsa_float_denorm_mode_32 3
		.amdhsa_float_denorm_mode_16_64 3
		.amdhsa_dx10_clamp 1
		.amdhsa_ieee_mode 1
		.amdhsa_fp16_overflow 0
		.amdhsa_tg_split 0
		.amdhsa_exception_fp_ieee_invalid_op 0
		.amdhsa_exception_fp_denorm_src 0
		.amdhsa_exception_fp_ieee_div_zero 0
		.amdhsa_exception_fp_ieee_overflow 0
		.amdhsa_exception_fp_ieee_underflow 0
		.amdhsa_exception_fp_ieee_inexact 0
		.amdhsa_exception_int_div_zero 0
	.end_amdhsa_kernel
	.section	.text._ZL33flash_attn_stream_k_fixup_generalILi128ELi2ELi16EEvPfPK15HIP_vector_typeIfLj2EEiiiiS1_IjLj3EES5_S5_S5_,"axG",@progbits,_ZL33flash_attn_stream_k_fixup_generalILi128ELi2ELi16EEvPfPK15HIP_vector_typeIfLj2EEiiiiS1_IjLj3EES5_S5_S5_,comdat
.Lfunc_end3:
	.size	_ZL33flash_attn_stream_k_fixup_generalILi128ELi2ELi16EEvPfPK15HIP_vector_typeIfLj2EEiiiiS1_IjLj3EES5_S5_S5_, .Lfunc_end3-_ZL33flash_attn_stream_k_fixup_generalILi128ELi2ELi16EEvPfPK15HIP_vector_typeIfLj2EEiiiiS1_IjLj3EES5_S5_S5_
                                        ; -- End function
	.set _ZL33flash_attn_stream_k_fixup_generalILi128ELi2ELi16EEvPfPK15HIP_vector_typeIfLj2EEiiiiS1_IjLj3EES5_S5_S5_.num_vgpr, 18
	.set _ZL33flash_attn_stream_k_fixup_generalILi128ELi2ELi16EEvPfPK15HIP_vector_typeIfLj2EEiiiiS1_IjLj3EES5_S5_S5_.num_agpr, 0
	.set _ZL33flash_attn_stream_k_fixup_generalILi128ELi2ELi16EEvPfPK15HIP_vector_typeIfLj2EEiiiiS1_IjLj3EES5_S5_S5_.numbered_sgpr, 36
	.set _ZL33flash_attn_stream_k_fixup_generalILi128ELi2ELi16EEvPfPK15HIP_vector_typeIfLj2EEiiiiS1_IjLj3EES5_S5_S5_.num_named_barrier, 0
	.set _ZL33flash_attn_stream_k_fixup_generalILi128ELi2ELi16EEvPfPK15HIP_vector_typeIfLj2EEiiiiS1_IjLj3EES5_S5_S5_.private_seg_size, 0
	.set _ZL33flash_attn_stream_k_fixup_generalILi128ELi2ELi16EEvPfPK15HIP_vector_typeIfLj2EEiiiiS1_IjLj3EES5_S5_S5_.uses_vcc, 1
	.set _ZL33flash_attn_stream_k_fixup_generalILi128ELi2ELi16EEvPfPK15HIP_vector_typeIfLj2EEiiiiS1_IjLj3EES5_S5_S5_.uses_flat_scratch, 0
	.set _ZL33flash_attn_stream_k_fixup_generalILi128ELi2ELi16EEvPfPK15HIP_vector_typeIfLj2EEiiiiS1_IjLj3EES5_S5_S5_.has_dyn_sized_stack, 0
	.set _ZL33flash_attn_stream_k_fixup_generalILi128ELi2ELi16EEvPfPK15HIP_vector_typeIfLj2EEiiiiS1_IjLj3EES5_S5_S5_.has_recursion, 0
	.set _ZL33flash_attn_stream_k_fixup_generalILi128ELi2ELi16EEvPfPK15HIP_vector_typeIfLj2EEiiiiS1_IjLj3EES5_S5_S5_.has_indirect_call, 0
	.section	.AMDGPU.csdata,"",@progbits
; Kernel info:
; codeLenInByte = 2940
; TotalNumSgprs: 42
; NumVgprs: 18
; NumAgprs: 0
; TotalNumVgprs: 18
; ScratchSize: 0
; MemoryBound: 0
; FloatMode: 240
; IeeeMode: 1
; LDSByteSize: 0 bytes/workgroup (compile time only)
; SGPRBlocks: 5
; VGPRBlocks: 2
; NumSGPRsForWavesPerEU: 42
; NumVGPRsForWavesPerEU: 18
; AccumOffset: 20
; Occupancy: 8
; WaveLimiterHint : 0
; COMPUTE_PGM_RSRC2:SCRATCH_EN: 0
; COMPUTE_PGM_RSRC2:USER_SGPR: 2
; COMPUTE_PGM_RSRC2:TRAP_HANDLER: 0
; COMPUTE_PGM_RSRC2:TGID_X_EN: 1
; COMPUTE_PGM_RSRC2:TGID_Y_EN: 1
; COMPUTE_PGM_RSRC2:TGID_Z_EN: 1
; COMPUTE_PGM_RSRC2:TIDIG_COMP_CNT: 0
; COMPUTE_PGM_RSRC3_GFX90A:ACCUM_OFFSET: 4
; COMPUTE_PGM_RSRC3_GFX90A:TG_SPLIT: 0
	.section	.text._ZL26flash_attn_combine_resultsILi128EEvPKfPK15HIP_vector_typeIfLj2EEPfi,"axG",@progbits,_ZL26flash_attn_combine_resultsILi128EEvPKfPK15HIP_vector_typeIfLj2EEPfi,comdat
	.globl	_ZL26flash_attn_combine_resultsILi128EEvPKfPK15HIP_vector_typeIfLj2EEPfi ; -- Begin function _ZL26flash_attn_combine_resultsILi128EEvPKfPK15HIP_vector_typeIfLj2EEPfi
	.p2align	8
	.type	_ZL26flash_attn_combine_resultsILi128EEvPKfPK15HIP_vector_typeIfLj2EEPfi,@function
_ZL26flash_attn_combine_resultsILi128EEvPKfPK15HIP_vector_typeIfLj2EEPfi: ; @_ZL26flash_attn_combine_resultsILi128EEvPKfPK15HIP_vector_typeIfLj2EEPfi
; %bb.0:
	s_load_dwordx2 s[6:7], s[0:1], 0x20
	s_load_dword s19, s[0:1], 0x18
	s_load_dwordx4 s[8:11], s[0:1], 0x0
	s_load_dwordx2 s[14:15], s[0:1], 0x10
	s_waitcnt lgkmcnt(0)
	s_mul_i32 s0, s6, s4
	s_add_i32 s0, s0, s2
	s_mul_i32 s18, s0, s7
	s_add_i32 s18, s18, s3
	s_lshl_b32 s20, s19, 1
	s_mul_i32 s2, s18, s19
	v_cmp_gt_i32_e32 vcc, s20, v0
	s_and_saveexec_b64 s[0:1], vcc
	s_cbranch_execz .LBB4_13
; %bb.1:
	v_xad_u32 v1, v0, -1, s20
	s_movk_i32 s4, 0x7f
	s_ashr_i32 s3, s2, 31
	v_cmp_lt_u32_e32 vcc, s4, v1
	s_mov_b64 s[6:7], -1
	v_mov_b32_e32 v2, v0
	s_and_saveexec_b64 s[4:5], vcc
	s_cbranch_execz .LBB4_10
; %bb.2:
	v_lshrrev_b32_e32 v6, 7, v1
	s_lshl_b64 s[6:7], s[2:3], 3
	v_add_u32_e32 v2, -1, v6
	s_add_u32 s6, s10, s6
	v_or_b32_e32 v1, 0x80, v0
	v_lshrrev_b32_e32 v3, 1, v2
	s_addc_u32 s7, s11, s7
	s_mov_b32 s21, 0
	v_add_u32_e32 v7, 1, v3
	v_cmp_lt_u32_e32 vcc, 13, v2
	v_mov_b32_e32 v4, 0
	v_mov_b64_e32 v[2:3], v[0:1]
	s_and_saveexec_b64 s[12:13], vcc
	s_cbranch_execz .LBB4_6
; %bb.3:
	v_and_b32_e32 v8, -8, v7
	v_lshl_add_u32 v9, v0, 2, 0
	s_mov_b64 s[16:17], 0
	v_mov_b32_e32 v5, 0
	v_mov_b64_e32 v[2:3], v[0:1]
.LBB4_4:                                ; =>This Inner Loop Header: Depth=1
	v_mov_b32_e32 v4, v2
	v_lshl_add_u64 v[24:25], v[4:5], 2, s[6:7]
	v_mov_b32_e32 v4, v3
	v_add_u32_e32 v10, 0x100, v3
	v_mov_b32_e32 v11, v5
	v_lshl_add_u64 v[26:27], v[4:5], 2, s[6:7]
	v_add_u32_e32 v4, 0x100, v2
	v_lshl_add_u64 v[10:11], v[10:11], 2, s[6:7]
	global_load_dword v1, v[24:25], off
	v_lshl_add_u64 v[24:25], v[4:5], 2, s[6:7]
	v_add_u32_e32 v4, 0x200, v2
	global_load_dword v28, v[26:27], off
	global_load_dword v29, v[24:25], off
	;; [unrolled: 1-line block ×3, first 2 shown]
	v_lshl_add_u64 v[10:11], v[4:5], 2, s[6:7]
	v_add_u32_e32 v4, 0x300, v2
	v_add_u32_e32 v12, 0x200, v3
	v_mov_b32_e32 v13, v5
	v_add_u32_e32 v14, 0x300, v3
	v_mov_b32_e32 v15, v5
	v_lshl_add_u64 v[24:25], v[4:5], 2, s[6:7]
	v_add_u32_e32 v4, 0x400, v2
	v_lshl_add_u64 v[12:13], v[12:13], 2, s[6:7]
	v_lshl_add_u64 v[14:15], v[14:15], 2, s[6:7]
	global_load_dword v26, v[10:11], off
	global_load_dword v27, v[12:13], off
	;; [unrolled: 1-line block ×4, first 2 shown]
	v_lshl_add_u64 v[10:11], v[4:5], 2, s[6:7]
	v_add_u32_e32 v4, 0x500, v2
	v_add_u32_e32 v16, 0x400, v3
	v_mov_b32_e32 v17, v5
	v_add_u32_e32 v18, 0x500, v3
	v_mov_b32_e32 v19, v5
	v_lshl_add_u64 v[12:13], v[4:5], 2, s[6:7]
	v_add_u32_e32 v4, 0x600, v2
	v_add_u32_e32 v20, 0x600, v3
	v_mov_b32_e32 v21, v5
	v_add_u32_e32 v22, 0x700, v3
	v_mov_b32_e32 v23, v5
	v_lshl_add_u64 v[16:17], v[16:17], 2, s[6:7]
	v_lshl_add_u64 v[18:19], v[18:19], 2, s[6:7]
	global_load_dword v14, v[10:11], off
	global_load_dword v15, v[16:17], off
	;; [unrolled: 1-line block ×4, first 2 shown]
	v_lshl_add_u64 v[10:11], v[4:5], 2, s[6:7]
	v_add_u32_e32 v4, 0x700, v2
	v_lshl_add_u64 v[20:21], v[20:21], 2, s[6:7]
	v_lshl_add_u64 v[22:23], v[22:23], 2, s[6:7]
	v_lshl_add_u64 v[12:13], v[4:5], 2, s[6:7]
	global_load_dword v16, v[10:11], off
	global_load_dword v17, v[20:21], off
	;; [unrolled: 1-line block ×4, first 2 shown]
	v_add_u32_e32 v8, -8, v8
	s_add_i32 s21, s21, 16
	v_cmp_eq_u32_e32 vcc, 0, v8
	v_add_u32_e32 v3, 0x800, v3
	v_mov_b32_e32 v4, s21
	s_or_b64 s[16:17], vcc, s[16:17]
	v_add_u32_e32 v2, 0x800, v2
	s_waitcnt vmcnt(14)
	ds_write2st64_b32 v9, v1, v28 offset1:2
	s_waitcnt vmcnt(12)
	ds_write2st64_b32 v9, v29, v30 offset0:4 offset1:6
	s_waitcnt vmcnt(10)
	ds_write2st64_b32 v9, v26, v27 offset0:8 offset1:10
	s_waitcnt vmcnt(8)
	ds_write2st64_b32 v9, v31, v32 offset0:12 offset1:14
	s_waitcnt vmcnt(6)
	ds_write2st64_b32 v9, v14, v15 offset0:16 offset1:18
	s_waitcnt vmcnt(4)
	ds_write2st64_b32 v9, v24, v25 offset0:20 offset1:22
	s_waitcnt vmcnt(2)
	ds_write2st64_b32 v9, v16, v17 offset0:24 offset1:26
	s_waitcnt vmcnt(0)
	ds_write2st64_b32 v9, v18, v19 offset0:28 offset1:30
	v_add_u32_e32 v9, 0x2000, v9
	s_andn2_b64 exec, exec, s[16:17]
	s_cbranch_execnz .LBB4_4
; %bb.5:
	s_or_b64 exec, exec, s[16:17]
.LBB4_6:
	s_or_b64 exec, exec, s[12:13]
	v_and_b32_e32 v1, 7, v7
	v_cmp_ne_u32_e32 vcc, 0, v1
	s_and_saveexec_b64 s[12:13], vcc
	s_cbranch_execz .LBB4_9
; %bb.7:
	v_lshlrev_b32_e32 v5, 2, v0
	v_lshl_or_b32 v4, v4, 9, v5
	v_add_u32_e32 v7, 0, v4
	s_mov_b64 s[16:17], 0
	v_mov_b32_e32 v5, 0
.LBB4_8:                                ; =>This Inner Loop Header: Depth=1
	v_mov_b32_e32 v4, v2
	v_lshl_add_u64 v[8:9], v[4:5], 2, s[6:7]
	v_mov_b32_e32 v4, v3
	v_lshl_add_u64 v[10:11], v[4:5], 2, s[6:7]
	global_load_dword v4, v[8:9], off
	global_load_dword v12, v[10:11], off
	v_add_u32_e32 v1, -1, v1
	v_cmp_eq_u32_e32 vcc, 0, v1
	v_add_u32_e32 v2, 0x100, v2
	v_add_u32_e32 v3, 0x100, v3
	s_or_b64 s[16:17], vcc, s[16:17]
	s_waitcnt vmcnt(0)
	ds_write2st64_b32 v7, v4, v12 offset1:2
	v_add_u32_e32 v7, 0x400, v7
	s_andn2_b64 exec, exec, s[16:17]
	s_cbranch_execnz .LBB4_8
.LBB4_9:
	s_or_b64 exec, exec, s[12:13]
	v_add_u32_e32 v1, 1, v6
	v_and_b32_e32 v3, 0x3fffffe, v1
	v_cmp_ne_u32_e32 vcc, v1, v3
	v_lshl_or_b32 v2, v3, 7, v0
	s_orn2_b64 s[6:7], vcc, exec
.LBB4_10:
	s_or_b64 exec, exec, s[4:5]
	s_and_b64 exec, exec, s[6:7]
	s_cbranch_execz .LBB4_13
; %bb.11:
	s_lshl_b64 s[4:5], s[2:3], 3
	s_add_u32 s4, s10, s4
	v_mov_b32_e32 v3, 0
	s_addc_u32 s5, s11, s5
	v_lshl_add_u64 v[4:5], v[2:3], 2, s[4:5]
	v_lshl_add_u32 v1, v2, 2, 0
	s_mov_b64 s[4:5], 0
	s_mov_b64 s[6:7], 0x200
.LBB4_12:                               ; =>This Inner Loop Header: Depth=1
	global_load_dword v3, v[4:5], off
	v_add_u32_e32 v2, 0x80, v2
	v_cmp_le_i32_e32 vcc, s20, v2
	v_lshl_add_u64 v[4:5], v[4:5], 0, s[6:7]
	s_or_b64 s[4:5], vcc, s[4:5]
	s_waitcnt vmcnt(0)
	ds_write_b32 v1, v3
	v_add_u32_e32 v1, 0x200, v1
	s_andn2_b64 exec, exec, s[4:5]
	s_cbranch_execnz .LBB4_12
.LBB4_13:
	s_or_b64 exec, exec, s[0:1]
	v_mov_b32_e32 v1, 0
	s_waitcnt lgkmcnt(0)
	s_barrier
	ds_read_b32 v1, v1
	s_cmp_lt_i32 s19, 2
	s_cbranch_scc1 .LBB4_21
; %bb.14:
	s_cmp_eq_u32 s19, 2
	s_cbranch_scc1 .LBB4_18
; %bb.15:
	s_add_i32 s3, s19, -1
	s_and_b32 s4, s3, -2
	s_add_i32 s6, 0, 8
	s_mov_b32 s5, 2
	s_waitcnt lgkmcnt(0)
	v_mov_b32_e32 v4, v1
.LBB4_16:                               ; =>This Inner Loop Header: Depth=1
	v_mov_b32_e32 v2, v1
	v_mov_b32_e32 v1, s6
	;; [unrolled: 1-line block ×3, first 2 shown]
	ds_read2_b32 v[4:5], v1 offset1:2
	s_cmp_lg_u32 s4, s5
	s_cselect_b64 s[10:11], -1, 0
	v_max_f32_e32 v1, v3, v3
	v_max_f32_e32 v6, v2, v2
	s_waitcnt lgkmcnt(0)
	v_cmp_u_f32_e32 vcc, v5, v5
	v_max_f32_e32 v7, v5, v5
	v_max_f32_e32 v8, v4, v4
	v_cndmask_b32_e64 v5, 0, 1, vcc
	v_cmp_u_f32_e32 vcc, v4, v4
	v_readfirstlane_b32 s0, v5
	s_lshl_b32 s0, s0, 1
	v_cndmask_b32_e64 v9, 0, 1, vcc
	v_max_f32_e32 v4, v1, v7
	v_readfirstlane_b32 s1, v9
	s_or_b32 s0, s1, s0
	s_and_b32 s7, s0, 3
	s_cmp_lg_u32 s7, 0
	s_cselect_b64 s[0:1], -1, 0
	s_cmp_eq_u32 s7, 0
	s_cselect_b64 s[12:13], -1, 0
	s_and_b64 s[10:11], s[12:13], s[10:11]
	v_max_f32_e32 v1, v6, v8
	s_add_i32 s5, s5, 2
	s_add_i32 s6, s6, 16
	s_and_b64 vcc, exec, s[10:11]
	s_cbranch_vccnz .LBB4_16
; %bb.17:
	s_add_i32 s5, s5, -4
	s_and_b64 s[6:7], s[0:1], exec
	s_cselect_b32 s5, s5, s3
	s_or_b32 s5, s5, 1
	v_cndmask_b32_e64 v1, v1, v2, s[0:1]
	v_cndmask_b32_e64 v2, v4, v3, s[0:1]
	s_cmp_lg_u32 s3, s4
	v_max_f32_e32 v2, v2, v2
	v_max_f32_e32 v1, v1, v1
	s_cselect_b64 s[6:7], -1, 0
	v_max_f32_e32 v1, v1, v2
	s_or_b64 s[0:1], s[6:7], s[0:1]
	s_and_b64 vcc, exec, s[0:1]
	s_cbranch_vccnz .LBB4_19
	s_branch .LBB4_21
.LBB4_18:
	s_mov_b32 s5, 1
	s_cbranch_execz .LBB4_21
.LBB4_19:
	s_lshl_b32 s1, s5, 3
	s_sub_i32 s0, s19, s5
	s_add_i32 s1, s1, 0
.LBB4_20:                               ; =>This Inner Loop Header: Depth=1
	v_mov_b32_e32 v2, s1
	ds_read_b32 v2, v2
	s_waitcnt lgkmcnt(1)
	v_max_f32_e32 v1, v1, v1
	s_add_i32 s0, s0, -1
	s_add_i32 s1, s1, 8
	s_cmp_eq_u32 s0, 0
	s_waitcnt lgkmcnt(0)
	v_max_f32_e32 v2, v2, v2
	v_max_f32_e32 v1, v1, v2
	s_cbranch_scc0 .LBB4_20
.LBB4_21:
	s_cmp_lt_i32 s19, 1
	s_cbranch_scc1 .LBB4_26
; %bb.22:
	s_lshl_b32 s0, s2, 7
	s_ashr_i32 s1, s0, 31
	s_lshl_b64 s[0:1], s[0:1], 2
	s_add_u32 s16, s8, s0
	s_addc_u32 s17, s9, s1
	s_cmp_lt_u32 s19, 8
	s_cbranch_scc1 .LBB4_27
; %bb.23:
	v_mov_b32_e32 v7, 0
	s_and_b32 s20, s19, 0x7ffffff8
	v_or_b32_e32 v4, 0x380, v0
	s_mov_b32 s21, 0
	s_mov_b32 s22, 0x3fb8aa3b
	;; [unrolled: 1-line block ×4, first 2 shown]
	v_mov_b32_e32 v8, 0x7f800000
	s_mov_b32 s25, 0
	v_mov_b32_e32 v2, v7
	v_mov_b32_e32 v3, v7
.LBB4_24:                               ; =>This Inner Loop Header: Depth=1
	v_add_u32_e32 v6, 0xfffffc80, v4
	v_lshl_add_u64 v[26:27], v[6:7], 2, s[16:17]
	v_add_u32_e32 v6, 0xfffffd00, v4
	v_mov_b32_e32 v9, s21
	v_lshl_add_u64 v[30:31], v[6:7], 2, s[16:17]
	v_add_u32_e32 v6, 0xfffffd80, v4
	ds_read2_b64 v[10:13], v9 offset1:1
	ds_read2_b64 v[14:17], v9 offset0:2 offset1:3
	ds_read2_b64 v[18:21], v9 offset0:4 offset1:5
	;; [unrolled: 1-line block ×3, first 2 shown]
	global_load_dword v33, v[26:27], off
	global_load_dword v35, v[30:31], off
	v_lshl_add_u64 v[26:27], v[6:7], 2, s[16:17]
	v_add_u32_e32 v6, 0xfffffe00, v4
	v_lshl_add_u64 v[30:31], v[6:7], 2, s[16:17]
	v_add_u32_e32 v6, 0xfffffe80, v4
	global_load_dword v37, v[26:27], off
	global_load_dword v39, v[30:31], off
	v_lshl_add_u64 v[26:27], v[6:7], 2, s[16:17]
	v_add_u32_e32 v6, 0xffffff00, v4
	s_waitcnt lgkmcnt(3)
	v_mov_b32_e32 v32, v11
	v_sub_f32_e32 v9, v12, v1
	v_mov_b32_e32 v34, v13
	global_load_dword v11, v[26:27], off
	v_lshl_add_u64 v[12:13], v[6:7], 2, s[16:17]
	s_waitcnt lgkmcnt(2)
	v_mov_b32_e32 v36, v15
	v_add_u32_e32 v6, 0xffffff80, v4
	global_load_dword v15, v[12:13], off
	v_mov_b32_e32 v5, v7
	v_lshl_add_u64 v[12:13], v[6:7], 2, s[16:17]
	v_lshl_add_u64 v[28:29], v[4:5], 2, s[16:17]
	v_sub_f32_e32 v5, v10, v1
	v_mov_b32_e32 v38, v17
	s_waitcnt lgkmcnt(1)
	v_mov_b32_e32 v10, v19
	global_load_dword v17, v[12:13], off
	global_load_dword v19, v[28:29], off
	v_sub_f32_e32 v30, v14, v1
	v_sub_f32_e32 v31, v16, v1
	v_sub_f32_e32 v40, v18, v1
	v_mov_b32_e32 v14, v21
	s_waitcnt lgkmcnt(0)
	v_sub_f32_e32 v21, v22, v1
	v_mov_b32_e32 v16, v23
	v_sub_f32_e32 v22, v24, v1
	v_mul_f32_e32 v23, 0x3fb8aa3b, v5
	v_mov_b32_e32 v18, v25
	v_mul_f32_e32 v24, 0x3fb8aa3b, v9
	v_mul_f32_e32 v25, 0x3fb8aa3b, v30
	;; [unrolled: 1-line block ×5, first 2 shown]
	v_fma_f32 v43, v5, s22, -v23
	v_rndne_f32_e32 v44, v23
	v_sub_f32_e32 v20, v20, v1
	v_fma_f32 v45, v9, s22, -v24
	v_rndne_f32_e32 v46, v24
	v_fma_f32 v47, v30, s22, -v25
	v_rndne_f32_e32 v48, v25
	;; [unrolled: 2-line block ×5, first 2 shown]
	v_fmac_f32_e32 v43, 0x32a5705f, v5
	v_sub_f32_e32 v12, v23, v44
	v_mul_f32_e32 v26, 0x3fb8aa3b, v31
	v_mul_f32_e32 v41, 0x3fb8aa3b, v20
	v_fmac_f32_e32 v45, 0x32a5705f, v9
	v_sub_f32_e32 v23, v24, v46
	v_fmac_f32_e32 v47, 0x32a5705f, v30
	v_sub_f32_e32 v25, v25, v48
	;; [unrolled: 2-line block ×5, first 2 shown]
	v_add_f32_e32 v12, v12, v43
	v_fma_f32 v49, v31, s22, -v26
	v_rndne_f32_e32 v50, v26
	v_fma_f32 v53, v20, s22, -v41
	v_rndne_f32_e32 v54, v41
	v_cvt_i32_f32_e32 v13, v44
	v_add_f32_e32 v23, v23, v45
	v_add_f32_e32 v25, v25, v47
	;; [unrolled: 1-line block ×5, first 2 shown]
	v_exp_f32_e32 v12, v12
	v_cvt_i32_f32_e32 v24, v46
	v_cvt_i32_f32_e32 v28, v48
	v_fmac_f32_e32 v49, 0x32a5705f, v31
	v_sub_f32_e32 v26, v26, v50
	v_cvt_i32_f32_e32 v29, v50
	v_cvt_i32_f32_e32 v44, v52
	v_fmac_f32_e32 v53, 0x32a5705f, v20
	v_sub_f32_e32 v41, v41, v54
	v_cvt_i32_f32_e32 v48, v56
	v_cvt_i32_f32_e32 v50, v58
	v_exp_f32_e32 v23, v23
	v_exp_f32_e32 v25, v25
	;; [unrolled: 1-line block ×5, first 2 shown]
	v_add_f32_e32 v26, v26, v49
	v_add_f32_e32 v41, v41, v53
	v_cvt_i32_f32_e32 v46, v54
	v_exp_f32_e32 v26, v26
	v_exp_f32_e32 v41, v41
	v_ldexp_f32 v12, v12, v13
	v_cmp_ngt_f32_e64 s[12:13], s23, v5
	v_ldexp_f32 v13, v23, v24
	v_cmp_ngt_f32_e32 vcc, s23, v9
	v_ldexp_f32 v23, v25, v28
	v_ldexp_f32 v25, v27, v44
	;; [unrolled: 1-line block ×3, first 2 shown]
	v_cmp_ngt_f32_e64 s[8:9], s23, v21
	v_ldexp_f32 v6, v6, v50
	v_cmp_ngt_f32_e64 s[10:11], s23, v22
	v_cndmask_b32_e64 v12, 0, v12, s[12:13]
	v_cmp_nlt_f32_e64 s[12:13], s24, v5
	v_cmp_ngt_f32_e64 s[0:1], s23, v30
	v_cndmask_b32_e32 v13, 0, v13, vcc
	v_cmp_nlt_f32_e32 vcc, s24, v9
	v_cndmask_b32_e64 v27, 0, v27, s[8:9]
	v_cmp_nlt_f32_e64 s[8:9], s24, v21
	v_cndmask_b32_e64 v21, 0, v6, s[10:11]
	v_cndmask_b32_e64 v6, v8, v12, s[12:13]
	v_ldexp_f32 v24, v26, v29
	v_cmp_ngt_f32_e64 s[2:3], s23, v31
	v_cmp_ngt_f32_e64 s[4:5], s23, v40
	v_ldexp_f32 v26, v41, v46
	v_cmp_ngt_f32_e64 s[6:7], s23, v20
	v_cndmask_b32_e64 v9, 0, v23, s[0:1]
	v_cmp_nlt_f32_e64 s[0:1], s24, v30
	v_cndmask_b32_e32 v12, v8, v13, vcc
	s_waitcnt vmcnt(7)
	v_pk_fma_f32 v[2:3], v[6:7], v[32:33], v[2:3] op_sel_hi:[0,1,1]
	v_cndmask_b32_e64 v23, 0, v24, s[2:3]
	v_cmp_nlt_f32_e64 s[2:3], s24, v31
	v_cndmask_b32_e64 v24, 0, v25, s[4:5]
	v_cndmask_b32_e64 v25, 0, v26, s[6:7]
	v_cmp_nlt_f32_e64 s[6:7], s24, v20
	v_cndmask_b32_e64 v20, v8, v9, s[0:1]
	s_waitcnt vmcnt(6)
	v_pk_fma_f32 v[2:3], v[12:13], v[34:35], v[2:3] op_sel_hi:[0,1,1]
	v_cmp_nlt_f32_e64 s[4:5], s24, v40
	v_cmp_nlt_f32_e64 s[10:11], s24, v22
	v_cndmask_b32_e64 v22, v8, v23, s[2:3]
	s_waitcnt vmcnt(5)
	v_pk_fma_f32 v[2:3], v[20:21], v[36:37], v[2:3] op_sel_hi:[0,1,1]
	v_cndmask_b32_e64 v24, v8, v24, s[4:5]
	s_waitcnt vmcnt(4)
	v_pk_fma_f32 v[2:3], v[22:23], v[38:39], v[2:3] op_sel_hi:[0,1,1]
	;; [unrolled: 3-line block ×4, first 2 shown]
	s_add_i32 s25, s25, 8
	s_add_i32 s21, s21, 64
	v_cndmask_b32_e64 v30, v8, v21, s[10:11]
	s_waitcnt vmcnt(1)
	v_pk_fma_f32 v[2:3], v[28:29], v[16:17], v[2:3] op_sel_hi:[0,1,1]
	s_cmp_eq_u32 s20, s25
	v_add_u32_e32 v4, 0x400, v4
	s_waitcnt vmcnt(0)
	v_pk_fma_f32 v[2:3], v[30:31], v[18:19], v[2:3] op_sel_hi:[0,1,1]
	s_cbranch_scc0 .LBB4_24
; %bb.25:
	s_and_b32 s0, s19, 7
	s_cmp_eq_u32 s0, 0
	s_cbranch_scc0 .LBB4_28
	s_branch .LBB4_30
.LBB4_26:
	s_waitcnt lgkmcnt(0)
	v_mov_b32_e32 v1, 0x7fc00000
	s_branch .LBB4_31
.LBB4_27:
	v_mov_b32_e32 v2, 0
	s_mov_b32 s20, 0
	v_mov_b32_e32 v3, v2
	s_and_b32 s0, s19, 7
	s_cmp_eq_u32 s0, 0
	s_cbranch_scc1 .LBB4_30
.LBB4_28:
	s_lshl_b32 s1, s20, 3
	v_lshl_or_b32 v4, s20, 7, v0
	s_add_i32 s1, s1, 0
	s_mov_b32 s2, 0x3fb8aa3b
	s_mov_b32 s3, 0xc2ce8ed0
	;; [unrolled: 1-line block ×3, first 2 shown]
	v_mov_b32_e32 v6, 0x7f800000
	v_mov_b32_e32 v5, 0
.LBB4_29:                               ; =>This Inner Loop Header: Depth=1
	v_lshl_add_u64 v[8:9], v[4:5], 2, s[16:17]
	global_load_dword v9, v[8:9], off
	v_mov_b32_e32 v7, s1
	ds_read_b64 v[10:11], v7
	s_add_i32 s1, s1, 8
	s_add_i32 s0, s0, -1
	v_add_u32_e32 v4, 0x80, v4
	s_cmp_lg_u32 s0, 0
	s_waitcnt lgkmcnt(0)
	v_sub_f32_e32 v7, v10, v1
	v_mul_f32_e32 v8, 0x3fb8aa3b, v7
	v_fma_f32 v10, v7, s2, -v8
	v_rndne_f32_e32 v12, v8
	v_fmac_f32_e32 v10, 0x32a5705f, v7
	v_sub_f32_e32 v8, v8, v12
	v_add_f32_e32 v8, v8, v10
	v_cvt_i32_f32_e32 v12, v12
	v_exp_f32_e32 v10, v8
	v_cmp_ngt_f32_e32 vcc, s3, v7
	v_mov_b32_e32 v8, v11
	v_ldexp_f32 v10, v10, v12
	v_cndmask_b32_e32 v10, 0, v10, vcc
	v_cmp_nlt_f32_e32 vcc, s4, v7
	s_nop 1
	v_cndmask_b32_e32 v10, v6, v10, vcc
	s_waitcnt vmcnt(0)
	v_pk_fma_f32 v[2:3], v[10:11], v[8:9], v[2:3] op_sel_hi:[0,1,1]
	s_cbranch_scc1 .LBB4_29
.LBB4_30:
	s_waitcnt lgkmcnt(0)
	v_div_scale_f32 v1, s[0:1], v2, v2, v3
	v_rcp_f32_e32 v4, v1
	v_div_scale_f32 v5, vcc, v3, v2, v3
	v_fma_f32 v6, -v1, v4, 1.0
	v_fmac_f32_e32 v4, v6, v4
	v_mul_f32_e32 v6, v5, v4
	v_fma_f32 v7, -v1, v6, v5
	v_fmac_f32_e32 v6, v7, v4
	v_fma_f32 v1, -v1, v6, v5
	v_div_fmas_f32 v1, v1, v4, v6
	v_div_fixup_f32 v1, v1, v2, v3
.LBB4_31:
	s_lshl_b32 s0, s18, 7
	s_ashr_i32 s1, s0, 31
	s_lshl_b64 s[0:1], s[0:1], 2
	s_add_u32 s0, s14, s0
	s_addc_u32 s1, s15, s1
	v_lshlrev_b32_e32 v0, 2, v0
	global_store_dword v0, v1, s[0:1]
	s_endpgm
	.section	.rodata,"a",@progbits
	.p2align	6, 0x0
	.amdhsa_kernel _ZL26flash_attn_combine_resultsILi128EEvPKfPK15HIP_vector_typeIfLj2EEPfi
		.amdhsa_group_segment_fixed_size 0
		.amdhsa_private_segment_fixed_size 0
		.amdhsa_kernarg_size 288
		.amdhsa_user_sgpr_count 2
		.amdhsa_user_sgpr_dispatch_ptr 0
		.amdhsa_user_sgpr_queue_ptr 0
		.amdhsa_user_sgpr_kernarg_segment_ptr 1
		.amdhsa_user_sgpr_dispatch_id 0
		.amdhsa_user_sgpr_kernarg_preload_length 0
		.amdhsa_user_sgpr_kernarg_preload_offset 0
		.amdhsa_user_sgpr_private_segment_size 0
		.amdhsa_uses_dynamic_stack 0
		.amdhsa_enable_private_segment 0
		.amdhsa_system_sgpr_workgroup_id_x 1
		.amdhsa_system_sgpr_workgroup_id_y 1
		.amdhsa_system_sgpr_workgroup_id_z 1
		.amdhsa_system_sgpr_workgroup_info 0
		.amdhsa_system_vgpr_workitem_id 0
		.amdhsa_next_free_vgpr 59
		.amdhsa_next_free_sgpr 26
		.amdhsa_accum_offset 60
		.amdhsa_reserve_vcc 1
		.amdhsa_float_round_mode_32 0
		.amdhsa_float_round_mode_16_64 0
		.amdhsa_float_denorm_mode_32 3
		.amdhsa_float_denorm_mode_16_64 3
		.amdhsa_dx10_clamp 1
		.amdhsa_ieee_mode 1
		.amdhsa_fp16_overflow 0
		.amdhsa_tg_split 0
		.amdhsa_exception_fp_ieee_invalid_op 0
		.amdhsa_exception_fp_denorm_src 0
		.amdhsa_exception_fp_ieee_div_zero 0
		.amdhsa_exception_fp_ieee_overflow 0
		.amdhsa_exception_fp_ieee_underflow 0
		.amdhsa_exception_fp_ieee_inexact 0
		.amdhsa_exception_int_div_zero 0
	.end_amdhsa_kernel
	.section	.text._ZL26flash_attn_combine_resultsILi128EEvPKfPK15HIP_vector_typeIfLj2EEPfi,"axG",@progbits,_ZL26flash_attn_combine_resultsILi128EEvPKfPK15HIP_vector_typeIfLj2EEPfi,comdat
.Lfunc_end4:
	.size	_ZL26flash_attn_combine_resultsILi128EEvPKfPK15HIP_vector_typeIfLj2EEPfi, .Lfunc_end4-_ZL26flash_attn_combine_resultsILi128EEvPKfPK15HIP_vector_typeIfLj2EEPfi
                                        ; -- End function
	.set _ZL26flash_attn_combine_resultsILi128EEvPKfPK15HIP_vector_typeIfLj2EEPfi.num_vgpr, 59
	.set _ZL26flash_attn_combine_resultsILi128EEvPKfPK15HIP_vector_typeIfLj2EEPfi.num_agpr, 0
	.set _ZL26flash_attn_combine_resultsILi128EEvPKfPK15HIP_vector_typeIfLj2EEPfi.numbered_sgpr, 26
	.set _ZL26flash_attn_combine_resultsILi128EEvPKfPK15HIP_vector_typeIfLj2EEPfi.num_named_barrier, 0
	.set _ZL26flash_attn_combine_resultsILi128EEvPKfPK15HIP_vector_typeIfLj2EEPfi.private_seg_size, 0
	.set _ZL26flash_attn_combine_resultsILi128EEvPKfPK15HIP_vector_typeIfLj2EEPfi.uses_vcc, 1
	.set _ZL26flash_attn_combine_resultsILi128EEvPKfPK15HIP_vector_typeIfLj2EEPfi.uses_flat_scratch, 0
	.set _ZL26flash_attn_combine_resultsILi128EEvPKfPK15HIP_vector_typeIfLj2EEPfi.has_dyn_sized_stack, 0
	.set _ZL26flash_attn_combine_resultsILi128EEvPKfPK15HIP_vector_typeIfLj2EEPfi.has_recursion, 0
	.set _ZL26flash_attn_combine_resultsILi128EEvPKfPK15HIP_vector_typeIfLj2EEPfi.has_indirect_call, 0
	.section	.AMDGPU.csdata,"",@progbits
; Kernel info:
; codeLenInByte = 2924
; TotalNumSgprs: 32
; NumVgprs: 59
; NumAgprs: 0
; TotalNumVgprs: 59
; ScratchSize: 0
; MemoryBound: 0
; FloatMode: 240
; IeeeMode: 1
; LDSByteSize: 0 bytes/workgroup (compile time only)
; SGPRBlocks: 3
; VGPRBlocks: 7
; NumSGPRsForWavesPerEU: 32
; NumVGPRsForWavesPerEU: 59
; AccumOffset: 60
; Occupancy: 8
; WaveLimiterHint : 0
; COMPUTE_PGM_RSRC2:SCRATCH_EN: 0
; COMPUTE_PGM_RSRC2:USER_SGPR: 2
; COMPUTE_PGM_RSRC2:TRAP_HANDLER: 0
; COMPUTE_PGM_RSRC2:TGID_X_EN: 1
; COMPUTE_PGM_RSRC2:TGID_Y_EN: 1
; COMPUTE_PGM_RSRC2:TGID_Z_EN: 1
; COMPUTE_PGM_RSRC2:TIDIG_COMP_CNT: 0
; COMPUTE_PGM_RSRC3_GFX90A:ACCUM_OFFSET: 14
; COMPUTE_PGM_RSRC3_GFX90A:TG_SPLIT: 0
	.section	.text._ZL15flash_attn_tileILi192ELi128ELi1ELi16ELb0EEvPKcS1_S1_S1_S1_PKiPfP15HIP_vector_typeIfLj2EEffffjfiS5_IjLj3EEiiiiiiiiiiiliiliiiiil,"axG",@progbits,_ZL15flash_attn_tileILi192ELi128ELi1ELi16ELb0EEvPKcS1_S1_S1_S1_PKiPfP15HIP_vector_typeIfLj2EEffffjfiS5_IjLj3EEiiiiiiiiiiiliiliiiiil,comdat
	.globl	_ZL15flash_attn_tileILi192ELi128ELi1ELi16ELb0EEvPKcS1_S1_S1_S1_PKiPfP15HIP_vector_typeIfLj2EEffffjfiS5_IjLj3EEiiiiiiiiiiiliiliiiiil ; -- Begin function _ZL15flash_attn_tileILi192ELi128ELi1ELi16ELb0EEvPKcS1_S1_S1_S1_PKiPfP15HIP_vector_typeIfLj2EEffffjfiS5_IjLj3EEiiiiiiiiiiiliiliiiiil
	.p2align	8
	.type	_ZL15flash_attn_tileILi192ELi128ELi1ELi16ELb0EEvPKcS1_S1_S1_S1_PKiPfP15HIP_vector_typeIfLj2EEffffjfiS5_IjLj3EEiiiiiiiiiiiliiliiiiil,@function
_ZL15flash_attn_tileILi192ELi128ELi1ELi16ELb0EEvPKcS1_S1_S1_S1_PKiPfP15HIP_vector_typeIfLj2EEffffjfiS5_IjLj3EEiiiiiiiiiiiliiliiiiil: ; @_ZL15flash_attn_tileILi192ELi128ELi1ELi16ELb0EEvPKcS1_S1_S1_S1_PKiPfP15HIP_vector_typeIfLj2EEffffjfiS5_IjLj3EEiiiiiiiiiiiliiliiiiil
; %bb.0:
	s_load_dwordx4 s[28:31], s[0:1], 0x5c
	s_load_dwordx2 s[34:35], s[0:1], 0x80
	s_load_dwordx16 s[12:27], s[0:1], 0x0
	s_mov_b64 s[36:37], 0
	s_waitcnt lgkmcnt(0)
	s_ashr_i32 s5, s31, 31
	s_lshr_b32 s5, s5, 28
	s_add_i32 s5, s31, s5
	s_ashr_i32 s5, s5, 4
	v_cvt_f32_u32_e32 v1, s5
	s_sub_i32 s6, 0, s5
	v_rcp_iflag_f32_e32 v1, v1
	s_nop 0
	v_mul_f32_e32 v1, 0x4f7ffffe, v1
	v_cvt_u32_f32_e32 v1, v1
	s_nop 0
	v_readfirstlane_b32 s7, v1
	s_mul_i32 s6, s6, s7
	s_mul_hi_u32 s6, s7, s6
	s_add_i32 s7, s7, s6
	s_mul_hi_u32 s6, s4, s7
	s_mul_i32 s7, s6, s5
	s_sub_i32 s7, s4, s7
	s_add_i32 s8, s6, 1
	s_sub_i32 s9, s7, s5
	s_cmp_ge_u32 s7, s5
	s_cselect_b32 s6, s8, s6
	s_cselect_b32 s7, s9, s7
	s_add_i32 s8, s6, 1
	s_cmp_ge_u32 s7, s5
	s_cselect_b32 s33, s8, s6
	s_abs_i32 s5, s35
	v_cvt_f32_u32_e32 v1, s5
	s_lshl_b32 s4, s4, 4
	s_mul_i32 s8, s33, s31
	s_xor_b32 s6, s31, s35
	v_rcp_iflag_f32_e32 v1, v1
	s_sub_i32 s9, 0, s5
	s_sub_i32 s35, s4, s8
	s_abs_i32 s7, s31
	v_mul_f32_e32 v1, 0x4f7ffffe, v1
	v_cvt_u32_f32_e32 v1, v1
	s_ashr_i32 s6, s6, 31
	v_readfirstlane_b32 s4, v1
	s_mul_i32 s9, s9, s4
	s_mul_hi_u32 s8, s4, s9
	s_add_i32 s4, s4, s8
	s_mul_hi_u32 s4, s7, s4
	s_mul_i32 s8, s4, s5
	s_sub_i32 s7, s7, s8
	s_add_i32 s9, s4, 1
	s_sub_i32 s8, s7, s5
	s_cmp_ge_u32 s7, s5
	s_cselect_b32 s4, s9, s4
	s_cselect_b32 s7, s8, s7
	s_add_i32 s8, s4, 1
	s_cmp_ge_u32 s7, s5
	s_cselect_b32 s4, s8, s4
	s_xor_b32 s4, s4, s6
	s_sub_i32 s39, s4, s6
	s_abs_i32 s38, s39
	v_cvt_f32_u32_e32 v1, s38
	s_load_dwordx2 s[4:5], s[0:1], 0xb8
	s_cmp_eq_u64 s[18:19], 0
	v_rcp_iflag_f32_e32 v1, v1
	s_nop 0
	v_mul_f32_e32 v1, 0x4f7ffffe, v1
	v_cvt_u32_f32_e32 v1, v1
	s_nop 0
	v_readfirstlane_b32 s40, v1
	s_cbranch_scc1 .LBB5_2
; %bb.1:
	s_waitcnt lgkmcnt(0)
	s_abs_i32 s4, s4
	v_cvt_f32_u32_e32 v1, s4
	s_sub_i32 s10, 0, s4
	s_abs_i32 s9, s33
	s_ashr_i32 s8, s33, 31
	v_rcp_iflag_f32_e32 v1, v1
	s_load_dwordx2 s[6:7], s[0:1], 0xc8
	v_mul_f32_e32 v1, 0x4f7ffffe, v1
	v_cvt_u32_f32_e32 v1, v1
	s_nop 0
	v_readfirstlane_b32 s11, v1
	s_mul_i32 s10, s10, s11
	s_mul_hi_u32 s10, s11, s10
	s_add_i32 s11, s11, s10
	s_mul_hi_u32 s10, s9, s11
	s_mul_i32 s10, s10, s4
	s_sub_i32 s9, s9, s10
	s_sub_i32 s10, s9, s4
	s_cmp_ge_u32 s9, s4
	s_cselect_b32 s9, s10, s9
	s_sub_i32 s10, s9, s4
	s_cmp_ge_u32 s9, s4
	s_cselect_b32 s4, s10, s9
	s_xor_b32 s4, s4, s8
	s_sub_i32 s4, s4, s8
	s_ashr_i32 s8, s4, 31
	s_waitcnt lgkmcnt(0)
	s_mul_hi_u32 s9, s6, s4
	s_mul_i32 s8, s6, s8
	s_mul_i32 s7, s7, s4
	s_add_i32 s8, s9, s8
	s_add_i32 s8, s8, s7
	s_mul_i32 s4, s6, s4
	s_add_u32 s36, s18, s4
	s_addc_u32 s37, s19, s8
.LBB5_2:
	s_load_dwordx4 s[44:47], s[0:1], 0x70
	v_lshrrev_b32_e32 v1, 10, v0
	v_bfe_u32 v1, v1, 3, 7
	v_add_u32_e32 v1, s2, v1
	v_mul_hi_u32 v2, s28, v1
	s_waitcnt lgkmcnt(0)
	s_mul_i32 s4, s33, s46
	s_ashr_i32 s7, s4, 31
	s_mul_i32 s6, s35, s45
	s_add_u32 s4, s12, s4
	s_addc_u32 s7, s13, s7
	s_ashr_i32 s8, s6, 31
	v_add_u32_e32 v2, v1, v2
	s_add_u32 s6, s4, s6
	v_lshrrev_b32_e32 v2, s29, v2
	s_addc_u32 s7, s7, s8
	s_ashr_i32 s11, s45, 31
	s_mov_b32 s10, s45
	v_mul_lo_u32 v2, v2, s30
	s_ashr_i32 s45, s44, 31
	v_sub_u32_e32 v8, v1, v2
	s_lshr_b64 s[12:13], s[44:45], 2
	v_mad_u64_u32 v[2:3], s[12:13], s12, v8, 0
	v_mov_b32_e32 v4, v3
	s_lshr_b32 s4, s45, 2
	v_bfe_u32 v11, v0, 10, 10
	v_mad_u64_u32 v[4:5], s[12:13], s4, v8, v[4:5]
	v_lshlrev_b32_e32 v10, 1, v11
	v_and_b32_e32 v0, 0x3ff, v0
	v_mov_b32_e32 v3, v4
	s_lshr_b64 s[8:9], s[10:11], 2
	v_lshl_add_u64 v[2:3], v[2:3], 2, s[6:7]
	v_lshlrev_b32_e32 v4, 4, v0
	v_mov_b32_e32 v5, 0
	v_and_b32_e32 v15, 14, v10
	v_lshl_add_u64 v[2:3], v[2:3], 0, v[4:5]
	v_mad_u64_u32 v[4:5], s[6:7], s8, v15, 0
	v_mov_b32_e32 v6, v5
	s_lshr_b32 s4, s11, 2
	v_mad_u64_u32 v[6:7], s[6:7], s4, v15, v[6:7]
	v_mov_b32_e32 v5, v6
	v_lshl_add_u64 v[4:5], v[4:5], 2, v[2:3]
	global_load_dwordx4 v[18:21], v[4:5], off
	s_load_dword s6, s[0:1], 0x40
	s_movk_i32 s4, 0x300
	v_lshlrev_b32_e32 v13, 3, v0
	v_mul_u32_u24_e32 v16, 0x300, v11
	v_mad_u32_u24 v9, v11, s4, v13
	s_waitcnt lgkmcnt(0)
	s_mov_b32 s7, s6
	v_cmp_gt_u32_e32 vcc, 16, v0
	s_waitcnt vmcnt(0)
	v_fma_mixlo_f16 v6, s6, v18, 0
	v_fma_mixlo_f16 v7, s6, v20, 0
	v_mov_b32_e32 v18, v21
	v_and_b32_e32 v12, 0xffff, v6
	v_and_b32_e32 v14, 0xffff, v7
	v_pk_mul_f32 v[6:7], s[6:7], v[18:19] op_sel_hi:[0,1]
	v_cvt_pk_f16_f32 v6, v6, v7
	v_lshlrev_b32_e32 v7, 16, v6
	v_and_b32_e32 v6, 0xffff0000, v6
	v_or_b32_e32 v6, v6, v12
	v_or3_b32 v7, v7, v14, 0
	v_or3_b32 v6, 0, 0, v6
	ds_write_b64 v9, v[6:7]
	s_and_saveexec_b64 s[10:11], vcc
	s_cbranch_execz .LBB5_4
; %bb.3:
	global_load_dwordx4 v[4:7], v[4:5], off offset:512
	s_waitcnt vmcnt(0)
	v_fma_mixlo_f16 v9, s6, v4, 0
	v_mov_b32_e32 v4, v7
	v_pk_mul_f32 v[4:5], s[6:7], v[4:5]
	v_fma_mixlo_f16 v6, s6, v6, 0
	v_cvt_pk_f16_f32 v4, v4, v5
	v_and_b32_e32 v7, 0xffff, v9
	v_lshlrev_b32_e32 v5, 16, v4
	v_and_b32_e32 v4, 0xffff0000, v4
	v_and_b32_e32 v6, 0xffff, v6
	v_or_b32_e32 v4, v4, v7
	v_or3_b32 v5, v5, v6, 0
	v_or3_b32 v4, 0, 0, v4
	v_add_u32_e32 v6, v13, v16
	ds_write_b64 v6, v[4:5] offset:256
.LBB5_4:
	s_or_b64 exec, exec, s[10:11]
	v_bitop3_b32 v7, v10, 15, 1 bitop3:0xc8
	v_mad_u64_u32 v[4:5], s[10:11], s8, v7, 0
	v_mov_b32_e32 v6, v5
	v_mad_u64_u32 v[6:7], s[8:9], s9, v7, v[6:7]
	v_mov_b32_e32 v5, v6
	v_lshl_add_u64 v[2:3], v[4:5], 2, v[2:3]
	global_load_dwordx4 v[18:21], v[2:3], off
	v_or_b32_e32 v4, 1, v10
	s_movk_i32 s4, 0x180
	v_mad_u32_u24 v5, v4, s4, v13
	s_waitcnt vmcnt(0)
	v_fma_mixlo_f16 v6, s6, v18, 0
	v_fma_mixlo_f16 v7, s6, v20, 0
	v_mov_b32_e32 v18, v21
	v_and_b32_e32 v9, 0xffff, v6
	v_and_b32_e32 v12, 0xffff, v7
	v_pk_mul_f32 v[6:7], s[6:7], v[18:19]
	s_nop 0
	v_cvt_pk_f16_f32 v6, v6, v7
	v_lshlrev_b32_e32 v7, 16, v6
	v_and_b32_e32 v6, 0xffff0000, v6
	v_or_b32_e32 v6, v6, v9
	v_or3_b32 v7, v7, v12, 0
	v_or3_b32 v6, 0, 0, v6
	ds_write_b64 v5, v[6:7]
	s_and_saveexec_b64 s[8:9], vcc
	s_cbranch_execz .LBB5_6
; %bb.5:
	global_load_dwordx4 v[18:21], v[2:3], off offset:512
	v_mul_u32_u24_e32 v4, 0x180, v4
	v_add_u32_e32 v4, v13, v4
	s_waitcnt vmcnt(0)
	v_fma_mixlo_f16 v2, s6, v18, 0
	v_fma_mixlo_f16 v3, s6, v20, 0
	v_mov_b32_e32 v18, v21
	v_and_b32_e32 v5, 0xffff, v2
	v_and_b32_e32 v6, 0xffff, v3
	v_pk_mul_f32 v[2:3], s[6:7], v[18:19]
	s_nop 0
	v_cvt_pk_f16_f32 v2, v2, v3
	v_lshlrev_b32_e32 v3, 16, v2
	v_and_b32_e32 v2, 0xffff0000, v2
	v_or_b32_e32 v2, v2, v5
	v_or3_b32 v3, v3, v6, 0
	v_or3_b32 v2, 0, 0, v2
	ds_write_b64 v4, v[2:3] offset:256
.LBB5_6:
	s_or_b64 exec, exec, s[8:9]
	s_cmp_eq_u64 s[22:23], 0
	s_waitcnt lgkmcnt(0)
	s_barrier
	s_cbranch_scc1 .LBB5_8
; %bb.7:
	s_load_dword s4, s[0:1], 0xd0
	s_mov_b32 s7, 0
	s_waitcnt lgkmcnt(0)
	s_mul_i32 s4, s4, s33
	s_add_i32 s6, s4, s2
	s_lshl_b64 s[6:7], s[6:7], 2
	s_add_u32 s6, s22, s6
	s_addc_u32 s7, s23, s7
	s_load_dword s34, s[6:7], 0x0
.LBB5_8:
	s_lshl_b32 s2, s3, 5
	s_waitcnt lgkmcnt(0)
	s_cmp_lt_i32 s2, s34
	v_mbcnt_lo_u32_b32 v4, -1, 0
	s_cbranch_scc1 .LBB5_11
; %bb.9:
	v_mbcnt_hi_u32_b32 v2, -1, v4
	v_and_b32_e32 v3, 0x60, v2
	v_add_u32_e32 v9, 32, v3
	v_xor_b32_e32 v21, 16, v2
	v_xor_b32_e32 v20, 8, v2
	;; [unrolled: 1-line block ×5, first 2 shown]
	v_lshlrev_b32_e32 v14, 2, v0
	s_cbranch_execz .LBB5_12
; %bb.10:
	v_mov_b32_e32 v5, 0
	v_mov_b32_e32 v31, 0
	;; [unrolled: 1-line block ×8, first 2 shown]
	s_branch .LBB5_14
.LBB5_11:
                                        ; implicit-def: $vgpr2
                                        ; implicit-def: $vgpr9
                                        ; implicit-def: $vgpr21
                                        ; implicit-def: $vgpr20
                                        ; implicit-def: $vgpr19
                                        ; implicit-def: $vgpr18
                                        ; implicit-def: $vgpr17
	v_lshlrev_b32_e32 v14, 2, v0
.LBB5_12:
	s_load_dwordx2 s[6:7], s[0:1], 0x8c
	s_load_dwordx4 s[8:11], s[0:1], 0x98
	s_sub_i32 s4, 0, s38
	s_mul_i32 s4, s4, s40
	s_mul_hi_u32 s4, s40, s4
	s_waitcnt lgkmcnt(0)
	s_ashr_i32 s23, s6, 2
	s_ashr_i32 s6, s33, 31
	;; [unrolled: 1-line block ×4, first 2 shown]
	s_mul_hi_u32 s5, s8, s33
	s_mul_i32 s29, s8, s6
	s_abs_i32 s18, s35
	s_add_i32 s40, s40, s4
	s_add_i32 s5, s5, s29
	s_mul_i32 s9, s9, s33
	s_mul_hi_u32 s4, s18, s40
	s_ashr_i32 s19, s35, 31
	s_ashr_i32 s28, s39, 31
	s_add_i32 s5, s5, s9
	s_mul_i32 s8, s8, s33
	s_add_u32 s8, s14, s8
	s_mul_i32 s14, s4, s38
	s_addc_u32 s5, s15, s5
	s_sub_i32 s14, s18, s14
	s_xor_b32 s9, s19, s28
	s_add_i32 s15, s4, 1
	s_sub_i32 s18, s14, s38
	s_cmp_ge_u32 s14, s38
	s_cselect_b32 s4, s15, s4
	s_cselect_b32 s14, s18, s14
	s_add_i32 s15, s4, 1
	s_cmp_ge_u32 s14, s38
	s_cselect_b32 s4, s15, s4
	s_load_dwordx2 s[12:13], s[0:1], 0xa8
	s_xor_b32 s4, s4, s9
	s_sub_i32 s9, s4, s9
	s_mul_i32 s4, s9, s7
	s_ashr_i32 s7, s4, 31
	s_add_u32 s4, s8, s4
	s_addc_u32 s5, s5, s7
	s_waitcnt lgkmcnt(0)
	s_mul_hi_u32 s7, s12, s33
	s_mul_i32 s6, s12, s6
	s_add_i32 s6, s7, s6
	s_mul_i32 s7, s13, s33
	v_lshrrev_b32_e32 v2, 3, v0
	s_add_i32 s6, s6, s7
	s_mul_i32 s7, s12, s33
	v_lshl_add_u32 v3, v11, 2, v2
	s_add_u32 s7, s16, s7
	s_mul_i32 s9, s9, s11
	v_mul_lo_u32 v6, s23, v3
	s_addc_u32 s8, s17, s6
	s_ashr_i32 s11, s9, 31
	v_and_b32_e32 v2, 28, v14
	v_ashrrev_i32_e32 v7, 31, v6
	s_add_u32 s6, s7, s9
	v_mul_u32_u24_e32 v5, 0x90, v3
	v_lshlrev_b32_e32 v2, 2, v2
	s_movk_i32 s9, 0x1800
	v_lshl_add_u64 v[6:7], v[6:7], 2, s[4:5]
	v_mov_b32_e32 v3, 0
	s_addc_u32 s7, s8, s11
	s_movk_i32 s8, 0x90
	v_add3_u32 v22, v5, v2, s9
	v_lshl_add_u64 v[6:7], v[6:7], 0, v[2:3]
	v_mov_b32_e32 v2, 0x1800
	v_mad_u32_u24 v24, v0, s8, v2
	v_mov_b32_e32 v2, 0x2a00
	v_lshl_add_u32 v25, v11, 7, v2
	v_lshrrev_b32_e32 v2, 4, v0
	v_add_u32_e32 v5, v2, v10
	v_mul_lo_u32 v10, s22, v5
	v_and_b32_e32 v2, 60, v14
	v_ashrrev_i32_e32 v11, 31, v10
	v_mad_u64_u32 v[8:9], s[4:5], v8, s10, v[0:1]
	v_lshlrev_b32_e32 v2, 2, v2
	v_lshl_add_u64 v[10:11], v[10:11], 2, s[6:7]
	v_lshl_or_b32 v9, v5, 8, v2
	v_lshl_add_u64 v[10:11], v[10:11], 0, v[2:3]
	v_mbcnt_hi_u32_b32 v2, -1, v4
	s_add_u32 s18, s0, 0xd0
	v_and_b32_e32 v4, 0x60, v2
	v_add_u32_e32 v26, 0x1800, v9
	s_addc_u32 s19, s1, 0
	v_mov_b32_e32 v12, 0xfeffffff
	v_add_u32_e32 v9, 32, v4
	v_xor_b32_e32 v21, 16, v2
	v_xor_b32_e32 v20, 8, v2
	;; [unrolled: 1-line block ×5, first 2 shown]
	s_mov_b32 s28, 0x3fb8aa3b
	s_mov_b32 s29, 0xc2ce8ed0
	;; [unrolled: 1-line block ×3, first 2 shown]
	v_mov_b32_e32 v27, 0x7f800000
	s_mov_b32 s39, 0x10001
	v_add_u32_e32 v28, v25, v14
	v_add_u32_e32 v29, 0x1800, v13
	;; [unrolled: 1-line block ×3, first 2 shown]
	v_mov_b32_e32 v23, v3
	v_mov_b32_e32 v32, v3
	;; [unrolled: 1-line block ×6, first 2 shown]
.LBB5_13:                               ; =>This Inner Loop Header: Depth=1
	s_mul_hi_i32 s13, s2, s23
	s_mul_i32 s12, s2, s23
	v_lshl_add_u64 v[50:51], s[12:13], 2, v[6:7]
	global_load_dwordx4 v[38:41], v[50:51], off
	v_mov_b32_e32 v35, 0
	v_mov_b32_e32 v36, 0
	;; [unrolled: 1-line block ×3, first 2 shown]
	v_add_u32_e32 v12, s2, v8
	v_mov_b32_e32 v33, v13
	v_ashrrev_i32_e32 v13, 31, v12
	v_lshl_add_u64 v[12:13], v[12:13], 1, s[36:37]
	s_mul_hi_i32 s15, s2, s22
	s_mul_i32 s14, s2, s22
	v_cmp_lt_i32_e64 s[10:11], v21, v9
	v_max_f32_e32 v56, v34, v34
	v_cmp_lt_i32_e64 s[4:5], v20, v9
	v_cndmask_b32_e64 v37, v2, v21, s[10:11]
	v_lshlrev_b32_e32 v37, 2, v37
	v_cndmask_b32_e64 v52, v2, v20, s[4:5]
	v_cmp_lt_i32_e64 s[6:7], v19, v9
	v_cmp_lt_i32_e64 s[8:9], v18, v9
	v_cmp_lt_i32_e32 vcc, v17, v9
	v_cndmask_b32_e64 v53, v2, v19, s[6:7]
	v_cndmask_b32_e64 v54, v2, v18, s[8:9]
	v_cndmask_b32_e32 v55, v2, v17, vcc
	s_waitcnt vmcnt(0)
	ds_write_b128 v22, v[38:41]
	s_waitcnt lgkmcnt(0)
	s_barrier
	ds_read_b128 v[38:41], v24
	ds_read_b128 v[42:45], v16
	ds_read_b128 v[46:49], v16 offset:384
	s_waitcnt lgkmcnt(1)
	;;#ASMSTART
	v_dot2_f32_f16 v35, v38, v42, v35
	;;#ASMEND
	s_nop 0
	;;#ASMSTART
	v_dot2_f32_f16 v35, v39, v43, v35
	;;#ASMEND
	s_nop 0
	;;#ASMSTART
	v_dot2_f32_f16 v35, v40, v44, v35
	;;#ASMEND
	s_nop 0
	;;#ASMSTART
	v_dot2_f32_f16 v35, v41, v45, v35
	;;#ASMEND
	s_waitcnt lgkmcnt(0)
	;;#ASMSTART
	v_dot2_f32_f16 v36, v38, v46, v36
	;;#ASMEND
	s_nop 0
	;;#ASMSTART
	v_dot2_f32_f16 v36, v39, v47, v36
	;;#ASMEND
	s_nop 0
	;;#ASMSTART
	v_dot2_f32_f16 v36, v40, v48, v36
	;;#ASMEND
	s_nop 0
	;;#ASMSTART
	v_dot2_f32_f16 v36, v41, v49, v36
	;;#ASMEND
	ds_read_b128 v[38:41], v24 offset:16
	ds_read_b128 v[42:45], v16 offset:16
	ds_read_b128 v[46:49], v16 offset:400
	s_waitcnt lgkmcnt(1)
	;;#ASMSTART
	v_dot2_f32_f16 v35, v38, v42, v35
	;;#ASMEND
	s_nop 0
	;;#ASMSTART
	v_dot2_f32_f16 v35, v39, v43, v35
	;;#ASMEND
	s_nop 0
	;;#ASMSTART
	v_dot2_f32_f16 v35, v40, v44, v35
	;;#ASMEND
	s_nop 0
	;;#ASMSTART
	v_dot2_f32_f16 v35, v41, v45, v35
	;;#ASMEND
	s_waitcnt lgkmcnt(0)
	;;#ASMSTART
	v_dot2_f32_f16 v36, v38, v46, v36
	;;#ASMEND
	s_nop 0
	;;#ASMSTART
	v_dot2_f32_f16 v36, v39, v47, v36
	;;#ASMEND
	s_nop 0
	;;#ASMSTART
	v_dot2_f32_f16 v36, v40, v48, v36
	;;#ASMEND
	s_nop 0
	;;#ASMSTART
	v_dot2_f32_f16 v36, v41, v49, v36
	;;#ASMEND
	ds_read_b128 v[38:41], v24 offset:32
	ds_read_b128 v[42:45], v16 offset:32
	ds_read_b128 v[46:49], v16 offset:416
	s_waitcnt lgkmcnt(1)
	;;#ASMSTART
	v_dot2_f32_f16 v35, v38, v42, v35
	;;#ASMEND
	s_nop 0
	;;#ASMSTART
	v_dot2_f32_f16 v35, v39, v43, v35
	;;#ASMEND
	s_nop 0
	;;#ASMSTART
	v_dot2_f32_f16 v35, v40, v44, v35
	;;#ASMEND
	s_nop 0
	;;#ASMSTART
	v_dot2_f32_f16 v35, v41, v45, v35
	;;#ASMEND
	s_waitcnt lgkmcnt(0)
	;;#ASMSTART
	v_dot2_f32_f16 v36, v38, v46, v36
	;;#ASMEND
	s_nop 0
	;;#ASMSTART
	v_dot2_f32_f16 v36, v39, v47, v36
	;;#ASMEND
	s_nop 0
	;;#ASMSTART
	v_dot2_f32_f16 v36, v40, v48, v36
	;;#ASMEND
	s_nop 0
	;;#ASMSTART
	v_dot2_f32_f16 v36, v41, v49, v36
	;;#ASMEND
	ds_read_b128 v[38:41], v24 offset:48
	ds_read_b128 v[42:45], v16 offset:48
	ds_read_b128 v[46:49], v16 offset:432
	s_waitcnt lgkmcnt(1)
	;;#ASMSTART
	v_dot2_f32_f16 v35, v38, v42, v35
	;;#ASMEND
	s_nop 0
	;;#ASMSTART
	v_dot2_f32_f16 v35, v39, v43, v35
	;;#ASMEND
	s_nop 0
	;;#ASMSTART
	v_dot2_f32_f16 v35, v40, v44, v35
	;;#ASMEND
	s_nop 0
	;;#ASMSTART
	v_dot2_f32_f16 v35, v41, v45, v35
	;;#ASMEND
	s_waitcnt lgkmcnt(0)
	;;#ASMSTART
	v_dot2_f32_f16 v36, v38, v46, v36
	;;#ASMEND
	s_nop 0
	;;#ASMSTART
	v_dot2_f32_f16 v36, v39, v47, v36
	;;#ASMEND
	s_nop 0
	;;#ASMSTART
	v_dot2_f32_f16 v36, v40, v48, v36
	;;#ASMEND
	s_nop 0
	;;#ASMSTART
	v_dot2_f32_f16 v36, v41, v49, v36
	;;#ASMEND
	ds_read_b128 v[38:41], v24 offset:64
	ds_read_b128 v[42:45], v16 offset:64
	ds_read_b128 v[46:49], v16 offset:448
	s_waitcnt lgkmcnt(1)
	;;#ASMSTART
	v_dot2_f32_f16 v35, v38, v42, v35
	;;#ASMEND
	s_nop 0
	;;#ASMSTART
	v_dot2_f32_f16 v35, v39, v43, v35
	;;#ASMEND
	s_nop 0
	;;#ASMSTART
	v_dot2_f32_f16 v35, v40, v44, v35
	;;#ASMEND
	s_nop 0
	;;#ASMSTART
	v_dot2_f32_f16 v35, v41, v45, v35
	;;#ASMEND
	s_waitcnt lgkmcnt(0)
	;;#ASMSTART
	v_dot2_f32_f16 v36, v38, v46, v36
	;;#ASMEND
	s_nop 0
	;;#ASMSTART
	v_dot2_f32_f16 v36, v39, v47, v36
	;;#ASMEND
	s_nop 0
	;;#ASMSTART
	v_dot2_f32_f16 v36, v40, v48, v36
	;;#ASMEND
	s_nop 0
	;;#ASMSTART
	v_dot2_f32_f16 v36, v41, v49, v36
	;;#ASMEND
	ds_read_b128 v[38:41], v24 offset:80
	ds_read_b128 v[42:45], v16 offset:80
	ds_read_b128 v[46:49], v16 offset:464
	s_waitcnt lgkmcnt(1)
	;;#ASMSTART
	v_dot2_f32_f16 v35, v38, v42, v35
	;;#ASMEND
	s_nop 0
	;;#ASMSTART
	v_dot2_f32_f16 v35, v39, v43, v35
	;;#ASMEND
	s_nop 0
	;;#ASMSTART
	v_dot2_f32_f16 v35, v40, v44, v35
	;;#ASMEND
	s_nop 0
	;;#ASMSTART
	v_dot2_f32_f16 v35, v41, v45, v35
	;;#ASMEND
	s_waitcnt lgkmcnt(0)
	;;#ASMSTART
	v_dot2_f32_f16 v36, v38, v46, v36
	;;#ASMEND
	s_nop 0
	;;#ASMSTART
	v_dot2_f32_f16 v36, v39, v47, v36
	;;#ASMEND
	s_nop 0
	;;#ASMSTART
	v_dot2_f32_f16 v36, v40, v48, v36
	;;#ASMEND
	s_nop 0
	;;#ASMSTART
	v_dot2_f32_f16 v36, v41, v49, v36
	;;#ASMEND
	ds_read_b128 v[38:41], v24 offset:96
	ds_read_b128 v[42:45], v16 offset:96
	ds_read_b128 v[46:49], v16 offset:480
	s_waitcnt lgkmcnt(1)
	;;#ASMSTART
	v_dot2_f32_f16 v35, v38, v42, v35
	;;#ASMEND
	s_nop 0
	;;#ASMSTART
	v_dot2_f32_f16 v35, v39, v43, v35
	;;#ASMEND
	s_nop 0
	;;#ASMSTART
	v_dot2_f32_f16 v35, v40, v44, v35
	;;#ASMEND
	s_nop 0
	;;#ASMSTART
	v_dot2_f32_f16 v35, v41, v45, v35
	;;#ASMEND
	s_waitcnt lgkmcnt(0)
	;;#ASMSTART
	v_dot2_f32_f16 v36, v38, v46, v36
	;;#ASMEND
	s_nop 0
	;;#ASMSTART
	v_dot2_f32_f16 v36, v39, v47, v36
	;;#ASMEND
	s_nop 0
	;;#ASMSTART
	v_dot2_f32_f16 v36, v40, v48, v36
	;;#ASMEND
	s_nop 0
	;;#ASMSTART
	v_dot2_f32_f16 v36, v41, v49, v36
	;;#ASMEND
	ds_read_b128 v[38:41], v24 offset:112
	ds_read_b128 v[42:45], v16 offset:112
	ds_read_b128 v[46:49], v16 offset:496
	s_waitcnt lgkmcnt(1)
	;;#ASMSTART
	v_dot2_f32_f16 v35, v38, v42, v35
	;;#ASMEND
	s_nop 0
	;;#ASMSTART
	v_dot2_f32_f16 v35, v39, v43, v35
	;;#ASMEND
	s_nop 0
	;; [unrolled: 4-line block ×3, first 2 shown]
	;;#ASMSTART
	v_dot2_f32_f16 v35, v41, v45, v35
	;;#ASMEND
	s_waitcnt lgkmcnt(0)
	;;#ASMSTART
	v_dot2_f32_f16 v36, v38, v46, v36
	;;#ASMEND
	s_nop 0
	;;#ASMSTART
	v_dot2_f32_f16 v36, v39, v47, v36
	;;#ASMEND
	s_nop 0
	;; [unrolled: 4-line block ×3, first 2 shown]
	;;#ASMSTART
	v_dot2_f32_f16 v36, v41, v49, v36
	;;#ASMEND
	s_barrier
	global_load_dwordx4 v[38:41], v[50:51], off offset:128
	s_waitcnt vmcnt(0)
	ds_write_b128 v22, v[38:41]
	s_waitcnt lgkmcnt(0)
	s_barrier
	ds_read_b128 v[38:41], v24
	ds_read_b128 v[42:45], v16 offset:128
	ds_read_b128 v[46:49], v16 offset:512
	s_waitcnt lgkmcnt(1)
	;;#ASMSTART
	v_dot2_f32_f16 v35, v38, v42, v35
	;;#ASMEND
	s_nop 0
	;;#ASMSTART
	v_dot2_f32_f16 v35, v39, v43, v35
	;;#ASMEND
	s_nop 0
	;;#ASMSTART
	v_dot2_f32_f16 v35, v40, v44, v35
	;;#ASMEND
	s_nop 0
	;;#ASMSTART
	v_dot2_f32_f16 v35, v41, v45, v35
	;;#ASMEND
	s_waitcnt lgkmcnt(0)
	;;#ASMSTART
	v_dot2_f32_f16 v36, v38, v46, v36
	;;#ASMEND
	s_nop 0
	;;#ASMSTART
	v_dot2_f32_f16 v36, v39, v47, v36
	;;#ASMEND
	s_nop 0
	;;#ASMSTART
	v_dot2_f32_f16 v36, v40, v48, v36
	;;#ASMEND
	s_nop 0
	;;#ASMSTART
	v_dot2_f32_f16 v36, v41, v49, v36
	;;#ASMEND
	ds_read_b128 v[38:41], v24 offset:16
	ds_read_b128 v[42:45], v16 offset:144
	ds_read_b128 v[46:49], v16 offset:528
	s_waitcnt lgkmcnt(1)
	;;#ASMSTART
	v_dot2_f32_f16 v35, v38, v42, v35
	;;#ASMEND
	s_nop 0
	;;#ASMSTART
	v_dot2_f32_f16 v35, v39, v43, v35
	;;#ASMEND
	s_nop 0
	;;#ASMSTART
	v_dot2_f32_f16 v35, v40, v44, v35
	;;#ASMEND
	s_nop 0
	;;#ASMSTART
	v_dot2_f32_f16 v35, v41, v45, v35
	;;#ASMEND
	s_waitcnt lgkmcnt(0)
	;;#ASMSTART
	v_dot2_f32_f16 v36, v38, v46, v36
	;;#ASMEND
	s_nop 0
	;;#ASMSTART
	v_dot2_f32_f16 v36, v39, v47, v36
	;;#ASMEND
	s_nop 0
	;;#ASMSTART
	v_dot2_f32_f16 v36, v40, v48, v36
	;;#ASMEND
	s_nop 0
	;;#ASMSTART
	v_dot2_f32_f16 v36, v41, v49, v36
	;;#ASMEND
	ds_read_b128 v[38:41], v24 offset:32
	;; [unrolled: 35-line block ×7, first 2 shown]
	ds_read_b128 v[42:45], v16 offset:240
	ds_read_b128 v[46:49], v16 offset:624
	s_waitcnt lgkmcnt(1)
	;;#ASMSTART
	v_dot2_f32_f16 v35, v38, v42, v35
	;;#ASMEND
	s_nop 0
	;;#ASMSTART
	v_dot2_f32_f16 v35, v39, v43, v35
	;;#ASMEND
	s_nop 0
	;; [unrolled: 4-line block ×3, first 2 shown]
	;;#ASMSTART
	v_dot2_f32_f16 v35, v41, v45, v35
	;;#ASMEND
	s_waitcnt lgkmcnt(0)
	;;#ASMSTART
	v_dot2_f32_f16 v36, v38, v46, v36
	;;#ASMEND
	s_nop 0
	;;#ASMSTART
	v_dot2_f32_f16 v36, v39, v47, v36
	;;#ASMEND
	s_nop 0
	;; [unrolled: 4-line block ×3, first 2 shown]
	;;#ASMSTART
	v_dot2_f32_f16 v36, v41, v49, v36
	;;#ASMEND
	s_barrier
	global_load_dwordx4 v[38:41], v[50:51], off offset:256
	v_lshlrev_b32_e32 v50, 2, v53
	v_lshlrev_b32_e32 v51, 2, v54
	s_waitcnt vmcnt(0)
	ds_write_b128 v22, v[38:41]
	s_waitcnt lgkmcnt(0)
	s_barrier
	ds_read_b128 v[38:41], v24
	ds_read_b128 v[42:45], v16 offset:256
	ds_read_b128 v[46:49], v16 offset:640
	s_waitcnt lgkmcnt(1)
	;;#ASMSTART
	v_dot2_f32_f16 v35, v38, v42, v35
	;;#ASMEND
	s_nop 0
	;;#ASMSTART
	v_dot2_f32_f16 v35, v39, v43, v35
	;;#ASMEND
	s_nop 0
	;;#ASMSTART
	v_dot2_f32_f16 v35, v40, v44, v35
	;;#ASMEND
	s_nop 0
	;;#ASMSTART
	v_dot2_f32_f16 v35, v41, v45, v35
	;;#ASMEND
	s_waitcnt lgkmcnt(0)
	;;#ASMSTART
	v_dot2_f32_f16 v36, v38, v46, v36
	;;#ASMEND
	s_nop 0
	;;#ASMSTART
	v_dot2_f32_f16 v36, v39, v47, v36
	;;#ASMEND
	s_nop 0
	;;#ASMSTART
	v_dot2_f32_f16 v36, v40, v48, v36
	;;#ASMEND
	s_nop 0
	;;#ASMSTART
	v_dot2_f32_f16 v36, v41, v49, v36
	;;#ASMEND
	ds_read_b128 v[38:41], v24 offset:16
	ds_read_b128 v[42:45], v16 offset:272
	ds_read_b128 v[46:49], v16 offset:656
	s_waitcnt lgkmcnt(1)
	;;#ASMSTART
	v_dot2_f32_f16 v35, v38, v42, v35
	;;#ASMEND
	s_nop 0
	;;#ASMSTART
	v_dot2_f32_f16 v35, v39, v43, v35
	;;#ASMEND
	s_nop 0
	;;#ASMSTART
	v_dot2_f32_f16 v35, v40, v44, v35
	;;#ASMEND
	s_nop 0
	;;#ASMSTART
	v_dot2_f32_f16 v35, v41, v45, v35
	;;#ASMEND
	s_waitcnt lgkmcnt(0)
	;;#ASMSTART
	v_dot2_f32_f16 v36, v38, v46, v36
	;;#ASMEND
	s_nop 0
	;;#ASMSTART
	v_dot2_f32_f16 v36, v39, v47, v36
	;;#ASMEND
	s_nop 0
	;;#ASMSTART
	v_dot2_f32_f16 v36, v40, v48, v36
	;;#ASMEND
	s_nop 0
	;;#ASMSTART
	v_dot2_f32_f16 v36, v41, v49, v36
	;;#ASMEND
	ds_read_b128 v[38:41], v24 offset:32
	;; [unrolled: 35-line block ×7, first 2 shown]
	ds_read_b128 v[42:45], v16 offset:368
	ds_read_b128 v[46:49], v16 offset:752
	s_waitcnt lgkmcnt(1)
	;;#ASMSTART
	v_dot2_f32_f16 v35, v38, v42, v35
	;;#ASMEND
	s_nop 0
	;;#ASMSTART
	v_dot2_f32_f16 v35, v39, v43, v35
	;;#ASMEND
	v_lshl_add_u64 v[42:43], s[14:15], 2, v[10:11]
	;;#ASMSTART
	v_dot2_f32_f16 v35, v40, v44, v35
	;;#ASMEND
	v_max_f32_e32 v44, v33, v33
	;;#ASMSTART
	v_dot2_f32_f16 v35, v41, v45, v35
	;;#ASMEND
	s_waitcnt lgkmcnt(0)
	;;#ASMSTART
	v_dot2_f32_f16 v36, v38, v46, v36
	;;#ASMEND
	v_lshlrev_b32_e32 v45, 2, v52
	;;#ASMSTART
	v_dot2_f32_f16 v36, v39, v47, v36
	;;#ASMEND
	v_lshlrev_b32_e32 v52, 2, v55
	;;#ASMSTART
	v_dot2_f32_f16 v36, v40, v48, v36
	;;#ASMEND
	s_nop 0
	;;#ASMSTART
	v_dot2_f32_f16 v36, v41, v49, v36
	;;#ASMEND
	global_load_ushort v12, v[12:13], off
	s_barrier
	global_load_dwordx4 v[38:41], v[42:43], off
	s_waitcnt vmcnt(1)
	v_cvt_f32_f16_e32 v12, v12
	v_add_f32_e32 v35, v35, v12
	v_add_f32_e32 v36, v36, v12
	;; [unrolled: 1-line block ×4, first 2 shown]
	v_max_f32_e32 v12, v56, v12
	v_max_f32_e32 v13, v44, v13
	ds_bpermute_b32 v42, v37, v12
	ds_bpermute_b32 v37, v37, v13
	s_waitcnt lgkmcnt(1)
	v_max_f32_e32 v42, v42, v42
	s_waitcnt lgkmcnt(0)
	v_max_f32_e32 v37, v37, v37
	v_max_f32_e32 v12, v12, v42
	v_max_f32_e32 v13, v13, v37
	ds_bpermute_b32 v37, v45, v12
	ds_bpermute_b32 v42, v45, v13
	s_waitcnt lgkmcnt(1)
	v_max_f32_e32 v37, v37, v37
	s_waitcnt lgkmcnt(0)
	v_max_f32_e32 v42, v42, v42
	;; [unrolled: 8-line block ×5, first 2 shown]
	v_max_f32_e32 v12, v12, v37
	v_max_f32_e32 v13, v13, v42
	v_sub_f32_e32 v34, v34, v12
	v_sub_f32_e32 v35, v35, v12
	;; [unrolled: 1-line block ×4, first 2 shown]
	v_mul_f32_e32 v37, 0x3fb8aa3b, v34
	v_mul_f32_e32 v42, 0x3fb8aa3b, v35
	;; [unrolled: 1-line block ×4, first 2 shown]
	v_fma_f32 v45, v34, s28, -v37
	v_rndne_f32_e32 v46, v37
	v_fma_f32 v47, v35, s28, -v42
	v_rndne_f32_e32 v48, v42
	;; [unrolled: 2-line block ×4, first 2 shown]
	v_cmp_ngt_f32_e32 vcc, s29, v35
	v_cmp_ngt_f32_e64 s[4:5], s29, v33
	v_cmp_ngt_f32_e64 s[6:7], s29, v36
	;; [unrolled: 1-line block ×3, first 2 shown]
	v_cmp_nlt_f32_e64 s[10:11], s38, v35
	v_cmp_nlt_f32_e64 s[12:13], s38, v33
	;; [unrolled: 1-line block ×4, first 2 shown]
	v_fmac_f32_e32 v45, 0x32a5705f, v34
	v_sub_f32_e32 v34, v37, v46
	v_fmac_f32_e32 v47, 0x32a5705f, v35
	v_sub_f32_e32 v35, v42, v48
	;; [unrolled: 2-line block ×4, first 2 shown]
	v_add_f32_e32 v34, v34, v45
	v_add_f32_e32 v35, v35, v47
	;; [unrolled: 1-line block ×4, first 2 shown]
	v_cvt_i32_f32_e32 v37, v46
	v_cvt_i32_f32_e32 v42, v48
	;; [unrolled: 1-line block ×4, first 2 shown]
	v_exp_f32_e32 v34, v34
	v_exp_f32_e32 v35, v35
	;; [unrolled: 1-line block ×4, first 2 shown]
	v_ldexp_f32 v34, v34, v37
	v_ldexp_f32 v35, v35, v42
	;; [unrolled: 1-line block ×4, first 2 shown]
	v_cndmask_b32_e64 v34, 0, v34, s[8:9]
	v_cndmask_b32_e32 v35, 0, v35, vcc
	v_cndmask_b32_e64 v33, 0, v33, s[4:5]
	v_cndmask_b32_e64 v37, 0, v36, s[6:7]
	;; [unrolled: 1-line block ×6, first 2 shown]
	v_cvt_f16_f32_e32 v33, v34
	v_pk_fma_f32 v[4:5], v[4:5], v[34:35], v[36:37]
	v_cvt_pk_f16_f32 v34, v36, v37
	v_cvt_f16_f32_e32 v42, v35
	ds_write_b32 v28, v34
	s_waitcnt vmcnt(0)
	ds_write_b128 v26, v[38:41]
	s_waitcnt lgkmcnt(0)
	s_barrier
	ds_read_b128 v[34:37], v25
	ds_read_b128 v[38:41], v25 offset:16
	v_mul_u32_u24_e32 v33, 0x10001, v33
	v_pk_mul_f16 v32, v32, v33
	s_or_b32 s4, s2, 16
	s_waitcnt lgkmcnt(1)
	v_mul_u32_u24_sdwa v43, v34, s39 dst_sel:DWORD dst_unused:UNUSED_PAD src0_sel:WORD_0 src1_sel:DWORD
	v_mul_u32_u24_sdwa v44, v34, s39 dst_sel:DWORD dst_unused:UNUSED_PAD src0_sel:WORD_1 src1_sel:DWORD
	v_mul_u32_u24_sdwa v45, v35, s39 dst_sel:DWORD dst_unused:UNUSED_PAD src0_sel:WORD_0 src1_sel:DWORD
	v_mul_u32_u24_sdwa v46, v35, s39 dst_sel:DWORD dst_unused:UNUSED_PAD src0_sel:WORD_1 src1_sel:DWORD
	v_mul_u32_u24_sdwa v47, v36, s39 dst_sel:DWORD dst_unused:UNUSED_PAD src0_sel:WORD_0 src1_sel:DWORD
	v_mul_u32_u24_sdwa v48, v36, s39 dst_sel:DWORD dst_unused:UNUSED_PAD src0_sel:WORD_1 src1_sel:DWORD
	v_mul_u32_u24_sdwa v49, v37, s39 dst_sel:DWORD dst_unused:UNUSED_PAD src0_sel:WORD_0 src1_sel:DWORD
	v_mul_u32_u24_sdwa v50, v37, s39 dst_sel:DWORD dst_unused:UNUSED_PAD src0_sel:WORD_1 src1_sel:DWORD
	ds_read2_b64 v[34:37], v29 offset1:32
	s_waitcnt lgkmcnt(1)
	v_mul_u32_u24_sdwa v51, v38, s39 dst_sel:DWORD dst_unused:UNUSED_PAD src0_sel:WORD_0 src1_sel:DWORD
	v_mul_u32_u24_sdwa v52, v38, s39 dst_sel:DWORD dst_unused:UNUSED_PAD src0_sel:WORD_1 src1_sel:DWORD
	v_mul_u32_u24_e32 v38, 0x10001, v42
	v_mul_u32_u24_sdwa v53, v39, s39 dst_sel:DWORD dst_unused:UNUSED_PAD src0_sel:WORD_0 src1_sel:DWORD
	v_mul_u32_u24_sdwa v54, v39, s39 dst_sel:DWORD dst_unused:UNUSED_PAD src0_sel:WORD_1 src1_sel:DWORD
	v_pk_mul_f16 v3, v3, v38
	s_waitcnt lgkmcnt(0)
	v_pk_mul_f16 v39, v34, v43
	v_pk_fma_f16 v32, v35, v43, v32
	v_pk_mul_f16 v34, v34, v44
	v_pk_fma_f16 v31, v31, v33, v39
	v_pk_fma_f16 v23, v23, v38, v34
	;; [unrolled: 1-line block ×4, first 2 shown]
	ds_read2_b64 v[32:35], v29 offset0:64 offset1:96
	v_pk_fma_f16 v31, v36, v45, v31
	v_pk_fma_f16 v3, v37, v46, v3
	;; [unrolled: 1-line block ×3, first 2 shown]
	v_mul_u32_u24_sdwa v55, v40, s39 dst_sel:DWORD dst_unused:UNUSED_PAD src0_sel:WORD_0 src1_sel:DWORD
	s_waitcnt lgkmcnt(0)
	v_pk_fma_f16 v36, v33, v47, v42
	v_pk_fma_f16 v31, v32, v47, v31
	v_pk_fma_f16 v3, v33, v48, v3
	v_pk_fma_f16 v23, v32, v48, v23
	v_pk_fma_f16 v36, v35, v49, v36
	v_pk_fma_f16 v31, v34, v49, v31
	v_pk_fma_f16 v3, v35, v50, v3
	v_pk_fma_f16 v23, v34, v50, v23
	ds_read2_b64 v[32:35], v29 offset0:128 offset1:160
	v_mul_u32_u24_sdwa v56, v40, s39 dst_sel:DWORD dst_unused:UNUSED_PAD src0_sel:WORD_1 src1_sel:DWORD
	v_mul_u32_u24_sdwa v57, v41, s39 dst_sel:DWORD dst_unused:UNUSED_PAD src0_sel:WORD_0 src1_sel:DWORD
	v_mul_u32_u24_sdwa v58, v41, s39 dst_sel:DWORD dst_unused:UNUSED_PAD src0_sel:WORD_1 src1_sel:DWORD
	ds_read_b128 v[38:41], v25 offset:32
	s_waitcnt lgkmcnt(1)
	v_pk_fma_f16 v36, v33, v51, v36
	v_pk_fma_f16 v3, v33, v52, v3
	;; [unrolled: 1-line block ×4, first 2 shown]
	s_waitcnt lgkmcnt(0)
	v_mul_u32_u24_sdwa v44, v38, s39 dst_sel:DWORD dst_unused:UNUSED_PAD src0_sel:WORD_0 src1_sel:DWORD
	v_mul_u32_u24_sdwa v45, v38, s39 dst_sel:DWORD dst_unused:UNUSED_PAD src0_sel:WORD_1 src1_sel:DWORD
	v_mul_u32_u24_sdwa v46, v39, s39 dst_sel:DWORD dst_unused:UNUSED_PAD src0_sel:WORD_0 src1_sel:DWORD
	v_mul_u32_u24_sdwa v59, v39, s39 dst_sel:DWORD dst_unused:UNUSED_PAD src0_sel:WORD_1 src1_sel:DWORD
	v_mul_u32_u24_sdwa v60, v40, s39 dst_sel:DWORD dst_unused:UNUSED_PAD src0_sel:WORD_0 src1_sel:DWORD
	v_mul_u32_u24_sdwa v61, v40, s39 dst_sel:DWORD dst_unused:UNUSED_PAD src0_sel:WORD_1 src1_sel:DWORD
	v_pk_fma_f16 v40, v35, v53, v36
	ds_read2_b64 v[36:39], v29 offset0:192 offset1:224
	v_pk_fma_f16 v31, v34, v53, v31
	v_pk_fma_f16 v3, v35, v54, v3
	;; [unrolled: 1-line block ×3, first 2 shown]
	ds_read2_b64 v[32:35], v30 offset1:32
	s_waitcnt lgkmcnt(1)
	v_pk_fma_f16 v40, v37, v55, v40
	v_pk_fma_f16 v3, v37, v56, v3
	;; [unrolled: 1-line block ×8, first 2 shown]
	ds_read2_b64 v[36:39], v30 offset0:64 offset1:96
	s_mul_hi_i32 s5, s4, s22
	s_mul_i32 s4, s4, s22
	s_waitcnt lgkmcnt(1)
	v_pk_fma_f16 v47, v33, v44, v47
	v_lshl_add_u64 v[48:49], s[4:5], 2, v[10:11]
	v_pk_fma_f16 v3, v33, v45, v3
	v_pk_fma_f16 v31, v32, v44, v31
	;; [unrolled: 1-line block ×4, first 2 shown]
	v_mul_u32_u24_sdwa v62, v41, s39 dst_sel:DWORD dst_unused:UNUSED_PAD src0_sel:WORD_0 src1_sel:DWORD
	v_mul_u32_u24_sdwa v63, v41, s39 dst_sel:DWORD dst_unused:UNUSED_PAD src0_sel:WORD_1 src1_sel:DWORD
	ds_read_b128 v[40:43], v25 offset:48
	v_pk_fma_f16 v31, v34, v46, v31
	ds_read2_b64 v[44:47], v30 offset0:128 offset1:160
	v_pk_fma_f16 v3, v35, v59, v3
	v_pk_fma_f16 v23, v34, v59, v23
	ds_read2_b64 v[32:35], v30 offset0:192 offset1:224
	s_waitcnt lgkmcnt(0)
	s_barrier
	v_pk_fma_f16 v52, v37, v60, v50
	global_load_dwordx4 v[48:51], v[48:49], off
	v_pk_fma_f16 v31, v36, v60, v31
	v_pk_fma_f16 v3, v37, v61, v3
	;; [unrolled: 1-line block ×3, first 2 shown]
	v_mul_u32_u24_sdwa v36, v40, s39 dst_sel:DWORD dst_unused:UNUSED_PAD src0_sel:WORD_0 src1_sel:DWORD
	v_pk_fma_f16 v37, v39, v62, v52
	v_pk_fma_f16 v31, v38, v62, v31
	v_mul_u32_u24_sdwa v40, v40, s39 dst_sel:DWORD dst_unused:UNUSED_PAD src0_sel:WORD_1 src1_sel:DWORD
	v_pk_fma_f16 v3, v39, v63, v3
	v_pk_fma_f16 v23, v38, v63, v23
	v_mul_u32_u24_sdwa v38, v41, s39 dst_sel:DWORD dst_unused:UNUSED_PAD src0_sel:WORD_0 src1_sel:DWORD
	v_mul_u32_u24_sdwa v39, v41, s39 dst_sel:DWORD dst_unused:UNUSED_PAD src0_sel:WORD_1 src1_sel:DWORD
	v_pk_fma_f16 v37, v45, v36, v37
	v_pk_fma_f16 v3, v45, v40, v3
	v_pk_fma_f16 v31, v44, v36, v31
	v_pk_fma_f16 v23, v44, v40, v23
	v_mul_u32_u24_sdwa v41, v42, s39 dst_sel:DWORD dst_unused:UNUSED_PAD src0_sel:WORD_0 src1_sel:DWORD
	v_mul_u32_u24_sdwa v42, v42, s39 dst_sel:DWORD dst_unused:UNUSED_PAD src0_sel:WORD_1 src1_sel:DWORD
	v_pk_fma_f16 v36, v47, v38, v37
	v_pk_fma_f16 v3, v47, v39, v3
	v_pk_fma_f16 v31, v46, v38, v31
	v_pk_fma_f16 v23, v46, v39, v23
	v_mul_u32_u24_sdwa v52, v43, s39 dst_sel:DWORD dst_unused:UNUSED_PAD src0_sel:WORD_0 src1_sel:DWORD
	v_mul_u32_u24_sdwa v43, v43, s39 dst_sel:DWORD dst_unused:UNUSED_PAD src0_sel:WORD_1 src1_sel:DWORD
	v_pk_fma_f16 v36, v33, v41, v36
	v_pk_fma_f16 v3, v33, v42, v3
	v_pk_fma_f16 v31, v32, v41, v31
	v_pk_fma_f16 v23, v32, v42, v23
	;; [unrolled: 1-line block ×6, first 2 shown]
	s_waitcnt vmcnt(0)
	ds_write_b128 v26, v[48:51]
	s_waitcnt lgkmcnt(0)
	s_barrier
	ds_read_b128 v[32:35], v25 offset:64
	ds_read_b128 v[36:39], v25 offset:80
	;; [unrolled: 1-line block ×3, first 2 shown]
	ds_read2_b64 v[44:47], v29 offset1:32
	ds_read_b128 v[48:51], v25 offset:112
	s_waitcnt lgkmcnt(4)
	v_mul_u32_u24_sdwa v52, v32, s39 dst_sel:DWORD dst_unused:UNUSED_PAD src0_sel:WORD_0 src1_sel:DWORD
	v_mul_u32_u24_sdwa v32, v32, s39 dst_sel:DWORD dst_unused:UNUSED_PAD src0_sel:WORD_1 src1_sel:DWORD
	v_mul_u32_u24_sdwa v54, v33, s39 dst_sel:DWORD dst_unused:UNUSED_PAD src0_sel:WORD_0 src1_sel:DWORD
	s_waitcnt lgkmcnt(1)
	v_pk_fma_f16 v31, v44, v52, v31
	v_pk_fma_f16 v52, v45, v52, v53
	v_mul_u32_u24_sdwa v33, v33, s39 dst_sel:DWORD dst_unused:UNUSED_PAD src0_sel:WORD_1 src1_sel:DWORD
	v_pk_fma_f16 v23, v44, v32, v23
	v_pk_fma_f16 v3, v45, v32, v3
	;; [unrolled: 1-line block ×6, first 2 shown]
	ds_read2_b64 v[44:47], v29 offset0:64 offset1:96
	v_mul_u32_u24_sdwa v33, v34, s39 dst_sel:DWORD dst_unused:UNUSED_PAD src0_sel:WORD_0 src1_sel:DWORD
	v_mul_u32_u24_sdwa v52, v34, s39 dst_sel:DWORD dst_unused:UNUSED_PAD src0_sel:WORD_1 src1_sel:DWORD
	v_mul_u32_u24_sdwa v53, v35, s39 dst_sel:DWORD dst_unused:UNUSED_PAD src0_sel:WORD_0 src1_sel:DWORD
	v_mul_u32_u24_sdwa v54, v35, s39 dst_sel:DWORD dst_unused:UNUSED_PAD src0_sel:WORD_1 src1_sel:DWORD
	s_waitcnt lgkmcnt(0)
	v_pk_fma_f16 v31, v44, v33, v31
	v_pk_fma_f16 v55, v45, v33, v32
	ds_read2_b64 v[32:35], v29 offset0:128 offset1:160
	v_pk_fma_f16 v23, v44, v52, v23
	v_pk_fma_f16 v3, v45, v52, v3
	v_pk_fma_f16 v31, v46, v53, v31
	v_pk_fma_f16 v23, v46, v54, v23
	v_pk_fma_f16 v52, v47, v53, v55
	v_pk_fma_f16 v3, v47, v54, v3
	ds_read2_b64 v[44:47], v29 offset0:192 offset1:224
	v_mul_u32_u24_sdwa v53, v36, s39 dst_sel:DWORD dst_unused:UNUSED_PAD src0_sel:WORD_0 src1_sel:DWORD
	v_mul_u32_u24_sdwa v36, v36, s39 dst_sel:DWORD dst_unused:UNUSED_PAD src0_sel:WORD_1 src1_sel:DWORD
	v_mul_u32_u24_sdwa v54, v37, s39 dst_sel:DWORD dst_unused:UNUSED_PAD src0_sel:WORD_0 src1_sel:DWORD
	s_waitcnt lgkmcnt(1)
	v_pk_fma_f16 v31, v32, v53, v31
	v_pk_fma_f16 v52, v33, v53, v52
	v_mul_u32_u24_sdwa v37, v37, s39 dst_sel:DWORD dst_unused:UNUSED_PAD src0_sel:WORD_1 src1_sel:DWORD
	v_pk_fma_f16 v23, v32, v36, v23
	v_pk_fma_f16 v3, v33, v36, v3
	;; [unrolled: 1-line block ×6, first 2 shown]
	ds_read2_b64 v[32:35], v30 offset1:32
	v_mul_u32_u24_sdwa v37, v38, s39 dst_sel:DWORD dst_unused:UNUSED_PAD src0_sel:WORD_0 src1_sel:DWORD
	v_mul_u32_u24_sdwa v52, v38, s39 dst_sel:DWORD dst_unused:UNUSED_PAD src0_sel:WORD_1 src1_sel:DWORD
	v_mul_u32_u24_sdwa v53, v39, s39 dst_sel:DWORD dst_unused:UNUSED_PAD src0_sel:WORD_0 src1_sel:DWORD
	v_mul_u32_u24_sdwa v54, v39, s39 dst_sel:DWORD dst_unused:UNUSED_PAD src0_sel:WORD_1 src1_sel:DWORD
	s_waitcnt lgkmcnt(1)
	v_pk_fma_f16 v31, v44, v37, v31
	v_pk_fma_f16 v55, v45, v37, v36
	ds_read2_b64 v[36:39], v30 offset0:64 offset1:96
	v_pk_fma_f16 v23, v44, v52, v23
	v_pk_fma_f16 v3, v45, v52, v3
	v_mul_u32_u24_sdwa v44, v40, s39 dst_sel:DWORD dst_unused:UNUSED_PAD src0_sel:WORD_0 src1_sel:DWORD
	v_pk_fma_f16 v31, v46, v53, v31
	v_pk_fma_f16 v45, v47, v53, v55
	v_mul_u32_u24_sdwa v52, v40, s39 dst_sel:DWORD dst_unused:UNUSED_PAD src0_sel:WORD_1 src1_sel:DWORD
	v_pk_fma_f16 v23, v46, v54, v23
	v_pk_fma_f16 v3, v47, v54, v3
	v_mul_u32_u24_sdwa v46, v41, s39 dst_sel:DWORD dst_unused:UNUSED_PAD src0_sel:WORD_0 src1_sel:DWORD
	s_waitcnt lgkmcnt(1)
	v_pk_fma_f16 v31, v32, v44, v31
	v_pk_fma_f16 v44, v33, v44, v45
	v_mul_u32_u24_sdwa v47, v41, s39 dst_sel:DWORD dst_unused:UNUSED_PAD src0_sel:WORD_1 src1_sel:DWORD
	v_mul_u32_u24_sdwa v53, v42, s39 dst_sel:DWORD dst_unused:UNUSED_PAD src0_sel:WORD_0 src1_sel:DWORD
	v_mul_u32_u24_sdwa v54, v42, s39 dst_sel:DWORD dst_unused:UNUSED_PAD src0_sel:WORD_1 src1_sel:DWORD
	v_mul_u32_u24_sdwa v55, v43, s39 dst_sel:DWORD dst_unused:UNUSED_PAD src0_sel:WORD_0 src1_sel:DWORD
	v_mul_u32_u24_sdwa v56, v43, s39 dst_sel:DWORD dst_unused:UNUSED_PAD src0_sel:WORD_1 src1_sel:DWORD
	ds_read2_b64 v[40:43], v30 offset0:128 offset1:160
	v_pk_fma_f16 v23, v32, v52, v23
	v_pk_fma_f16 v3, v33, v52, v3
	;; [unrolled: 1-line block ×6, first 2 shown]
	s_waitcnt lgkmcnt(1)
	v_pk_fma_f16 v52, v37, v53, v32
	ds_read2_b64 v[32:35], v30 offset0:192 offset1:224
	s_waitcnt lgkmcnt(0)
	s_barrier
	s_load_dword s4, s[18:19], 0x4
	v_pk_fma_f16 v31, v36, v53, v31
	v_pk_fma_f16 v23, v36, v54, v23
	;; [unrolled: 1-line block ×3, first 2 shown]
	v_mul_u32_u24_sdwa v45, v48, s39 dst_sel:DWORD dst_unused:UNUSED_PAD src0_sel:WORD_0 src1_sel:DWORD
	v_mul_u32_u24_sdwa v44, v48, s39 dst_sel:DWORD dst_unused:UNUSED_PAD src0_sel:WORD_1 src1_sel:DWORD
	v_pk_fma_f16 v31, v38, v55, v31
	v_pk_fma_f16 v23, v38, v56, v23
	;; [unrolled: 1-line block ×4, first 2 shown]
	v_mul_u32_u24_sdwa v46, v49, s39 dst_sel:DWORD dst_unused:UNUSED_PAD src0_sel:WORD_0 src1_sel:DWORD
	v_mul_u32_u24_sdwa v47, v49, s39 dst_sel:DWORD dst_unused:UNUSED_PAD src0_sel:WORD_1 src1_sel:DWORD
	v_pk_fma_f16 v31, v40, v45, v31
	v_pk_fma_f16 v23, v40, v44, v23
	;; [unrolled: 1-line block ×4, first 2 shown]
	v_mul_u32_u24_sdwa v48, v50, s39 dst_sel:DWORD dst_unused:UNUSED_PAD src0_sel:WORD_0 src1_sel:DWORD
	v_mul_u32_u24_sdwa v49, v50, s39 dst_sel:DWORD dst_unused:UNUSED_PAD src0_sel:WORD_1 src1_sel:DWORD
	s_waitcnt lgkmcnt(0)
	s_lshl_b32 s4, s4, 5
	v_pk_fma_f16 v31, v42, v46, v31
	v_pk_fma_f16 v23, v42, v47, v23
	;; [unrolled: 1-line block ×4, first 2 shown]
	v_mul_u32_u24_sdwa v50, v51, s39 dst_sel:DWORD dst_unused:UNUSED_PAD src0_sel:WORD_0 src1_sel:DWORD
	v_mul_u32_u24_sdwa v51, v51, s39 dst_sel:DWORD dst_unused:UNUSED_PAD src0_sel:WORD_1 src1_sel:DWORD
	s_add_i32 s2, s4, s2
	v_pk_fma_f16 v31, v32, v48, v31
	v_pk_fma_f16 v23, v32, v49, v23
	;; [unrolled: 1-line block ×4, first 2 shown]
	s_cmp_ge_i32 s2, s34
	v_pk_fma_f16 v31, v34, v50, v31
	v_pk_fma_f16 v23, v34, v51, v23
	;; [unrolled: 1-line block ×4, first 2 shown]
	s_cbranch_scc0 .LBB5_13
.LBB5_14:
	v_cmp_lt_i32_e32 vcc, v21, v9
	s_cmp_lg_u64 s[20:21], 0
	s_cselect_b64 s[6:7], -1, 0
	v_cndmask_b32_e32 v6, v2, v21, vcc
	v_lshlrev_b32_e32 v7, 2, v6
	ds_bpermute_b32 v6, v7, v4
	ds_bpermute_b32 v7, v7, v5
	v_cmp_lt_i32_e32 vcc, v20, v9
	s_cmp_eq_u32 s3, 0
	s_cselect_b64 s[8:9], -1, 0
	v_cndmask_b32_e32 v8, v2, v20, vcc
	v_lshlrev_b32_e32 v8, 2, v8
	s_waitcnt lgkmcnt(0)
	v_pk_add_f32 v[4:5], v[4:5], v[6:7]
	ds_bpermute_b32 v6, v8, v4
	ds_bpermute_b32 v7, v8, v5
	v_cmp_lt_i32_e32 vcc, v19, v9
	s_and_b64 s[6:7], s[8:9], s[6:7]
	s_mov_b64 s[4:5], 0
	v_cndmask_b32_e32 v8, v2, v19, vcc
	v_lshlrev_b32_e32 v8, 2, v8
	s_waitcnt lgkmcnt(0)
	v_pk_add_f32 v[4:5], v[4:5], v[6:7]
	ds_bpermute_b32 v6, v8, v4
	ds_bpermute_b32 v7, v8, v5
	v_cmp_lt_i32_e32 vcc, v18, v9
	s_waitcnt lgkmcnt(0)
	v_pk_add_f32 v[4:5], v[4:5], v[6:7]
	v_cndmask_b32_e32 v8, v2, v18, vcc
	v_lshlrev_b32_e32 v8, 2, v8
	ds_bpermute_b32 v6, v8, v4
	ds_bpermute_b32 v7, v8, v5
	v_cmp_lt_i32_e32 vcc, v17, v9
	s_waitcnt lgkmcnt(0)
	v_pk_add_f32 v[4:5], v[4:5], v[6:7]
	v_cndmask_b32_e32 v2, v2, v17, vcc
	v_lshlrev_b32_e32 v2, 2, v2
	ds_bpermute_b32 v8, v2, v4
	ds_bpermute_b32 v9, v2, v5
	s_and_b64 vcc, exec, s[6:7]
	v_add_u32_e32 v6, s35, v15
	s_cbranch_vccnz .LBB5_17
; %bb.15:
	v_add_u32_e32 v2, s35, v15
	s_andn2_b64 vcc, exec, s[4:5]
	s_waitcnt lgkmcnt(0)
	v_pk_add_f32 v[4:5], v[4:5], v[8:9]
	s_cbranch_vccz .LBB5_18
; %bb.16:
	v_mov_b32_e32 v6, v2
	s_branch .LBB5_19
.LBB5_17:
                                        ; implicit-def: $vgpr2
	s_waitcnt lgkmcnt(0)
	v_pk_add_f32 v[4:5], v[4:5], v[8:9]
.LBB5_18:
	v_ashrrev_i32_e32 v7, 31, v6
	v_lshl_add_u64 v[8:9], v[6:7], 2, s[20:21]
	global_load_dwordx2 v[8:9], v[8:9], off
	v_max_f32_e32 v2, v12, v12
	v_max_f32_e32 v11, v13, v13
	s_mov_b32 s2, 0x3fb8aa3b
	s_mov_b32 s4, 0xc2ce8ed0
	s_mov_b32 s5, 0x42b17218
	v_mov_b32_e32 v7, 0x7f800000
	s_waitcnt vmcnt(0)
	v_max_f32_e32 v10, v8, v8
	v_max_f32_e32 v10, v2, v10
	;; [unrolled: 1-line block ×3, first 2 shown]
	v_sub_f32_e32 v2, v12, v10
	v_max_f32_e32 v11, v11, v15
	v_sub_f32_e32 v12, v8, v10
	v_mul_f32_e32 v8, 0x3fb8aa3b, v2
	v_sub_f32_e32 v13, v13, v11
	v_sub_f32_e32 v15, v9, v11
	v_mul_f32_e32 v9, 0x3fb8aa3b, v12
	v_fma_f32 v18, v2, s2, -v8
	v_rndne_f32_e32 v19, v8
	v_mul_f32_e32 v16, 0x3fb8aa3b, v13
	v_fma_f32 v20, v12, s2, -v9
	v_rndne_f32_e32 v21, v9
	v_fmac_f32_e32 v18, 0x32a5705f, v2
	v_sub_f32_e32 v8, v8, v19
	v_mul_f32_e32 v17, 0x3fb8aa3b, v15
	v_fma_f32 v22, v13, s2, -v16
	v_rndne_f32_e32 v24, v16
	v_fmac_f32_e32 v20, 0x32a5705f, v12
	v_sub_f32_e32 v9, v9, v21
	v_add_f32_e32 v8, v8, v18
	v_fma_f32 v25, v15, s2, -v17
	v_rndne_f32_e32 v26, v17
	v_cvt_i32_f32_e32 v19, v19
	v_fmac_f32_e32 v22, 0x32a5705f, v13
	v_sub_f32_e32 v16, v16, v24
	v_add_f32_e32 v9, v9, v20
	v_exp_f32_e32 v8, v8
	v_cvt_i32_f32_e32 v21, v21
	v_fmac_f32_e32 v25, 0x32a5705f, v15
	v_sub_f32_e32 v17, v17, v26
	v_add_f32_e32 v16, v16, v22
	v_exp_f32_e32 v9, v9
	v_cvt_i32_f32_e32 v24, v24
	v_add_f32_e32 v17, v17, v25
	v_exp_f32_e32 v16, v16
	v_cvt_i32_f32_e32 v26, v26
	v_exp_f32_e32 v17, v17
	v_ldexp_f32 v8, v8, v19
	v_cmp_ngt_f32_e32 vcc, s4, v2
	v_ldexp_f32 v9, v9, v21
	v_ldexp_f32 v16, v16, v24
	v_cndmask_b32_e32 v8, 0, v8, vcc
	v_cmp_ngt_f32_e32 vcc, s4, v12
	v_ldexp_f32 v17, v17, v26
	s_nop 0
	v_cndmask_b32_e32 v9, 0, v9, vcc
	v_cmp_ngt_f32_e32 vcc, s4, v13
	s_nop 1
	v_cndmask_b32_e32 v16, 0, v16, vcc
	v_cmp_ngt_f32_e32 vcc, s4, v15
	s_nop 1
	v_cndmask_b32_e32 v17, 0, v17, vcc
	v_cmp_nlt_f32_e32 vcc, s5, v2
	s_nop 1
	v_cndmask_b32_e32 v8, v7, v8, vcc
	v_cmp_nlt_f32_e32 vcc, s5, v12
	v_cvt_f16_f32_e32 v2, v8
	v_mul_u32_u24_e32 v2, 0x10001, v2
	v_cndmask_b32_e32 v12, v7, v9, vcc
	v_cmp_nlt_f32_e32 vcc, s5, v13
	v_pk_mul_f16 v31, v31, v2
	v_pk_mul_f16 v32, v32, v2
	v_cndmask_b32_e32 v9, v7, v16, vcc
	v_cvt_f16_f32_e32 v16, v9
	v_cmp_nlt_f32_e32 vcc, s5, v15
	s_nop 1
	v_cndmask_b32_e32 v13, v7, v17, vcc
	v_mul_u32_u24_e32 v7, 0x10001, v16
	v_pk_fma_f32 v[4:5], v[4:5], v[8:9], v[12:13]
	v_pk_mul_f16 v23, v23, v7
	v_pk_mul_f16 v3, v3, v7
	v_mov_b64_e32 v[12:13], v[10:11]
.LBB5_19:
	s_load_dword s6, s[0:1], 0xd4
	v_mov_b32_e32 v2, 1.0
	s_waitcnt lgkmcnt(0)
	s_cmp_lg_u32 s6, 1
	s_cselect_b64 s[0:1], -1, 0
	s_cmp_eq_u32 s6, 1
	s_cselect_b64 s[4:5], -1, 0
	s_and_b64 vcc, exec, s[0:1]
	s_cbranch_vccnz .LBB5_21
; %bb.20:
	v_div_scale_f32 v2, s[8:9], v4, v4, 1.0
	v_rcp_f32_e32 v7, v2
	v_div_scale_f32 v8, vcc, 1.0, v4, 1.0
	v_fma_f32 v9, -v2, v7, 1.0
	v_fmac_f32_e32 v7, v9, v7
	v_mul_f32_e32 v9, v8, v7
	v_fma_f32 v10, -v2, v9, v8
	v_fmac_f32_e32 v9, v10, v7
	v_fma_f32 v2, -v2, v9, v8
	v_div_fmas_f32 v2, v2, v7, v9
	v_div_fixup_f32 v2, v2, v4, 1.0
.LBB5_21:
	s_mul_i32 s33, s33, s30
	v_add_u32_e32 v1, s33, v1
	v_mad_u64_u32 v[6:7], s[8:9], v1, s31, v[6:7]
	v_cvt_f32_f16_sdwa v9, v31 dst_sel:DWORD dst_unused:UNUSED_PAD src0_sel:WORD_1
	v_cvt_f32_f16_e32 v8, v31
	v_cvt_f32_f16_sdwa v11, v32 dst_sel:DWORD dst_unused:UNUSED_PAD src0_sel:WORD_1
	v_cvt_f32_f16_e32 v10, v32
	v_cmp_eq_u32_e32 vcc, 0, v0
	v_mul_lo_u32 v0, s6, v6
	v_add_u32_e32 v0, s3, v0
	v_lshl_add_u32 v6, v0, 7, v14
	v_mov_b32_e32 v7, 0
	s_and_b64 s[0:1], vcc, s[0:1]
	v_lshl_add_u64 v[16:17], v[6:7], 2, s[24:25]
	v_pk_mul_f32 v[6:7], v[2:3], v[8:9] op_sel_hi:[0,1]
	v_pk_mul_f32 v[8:9], v[2:3], v[10:11] op_sel_hi:[0,1]
	global_store_dwordx4 v[16:17], v[6:9], off
	s_and_saveexec_b64 s[2:3], s[0:1]
	s_cbranch_execz .LBB5_23
; %bb.22:
	v_ashrrev_i32_e32 v1, 31, v0
	v_lshl_add_u64 v[6:7], v[0:1], 3, s[26:27]
	v_mov_b32_e32 v8, v12
	v_mov_b32_e32 v9, v4
	global_store_dwordx2 v[6:7], v[8:9], off
.LBB5_23:
	s_or_b64 exec, exec, s[2:3]
	s_andn2_b64 vcc, exec, s[4:5]
	v_mov_b32_e32 v2, 1.0
	s_cbranch_vccnz .LBB5_25
; %bb.24:
	v_div_scale_f32 v1, s[2:3], v5, v5, 1.0
	v_rcp_f32_e32 v2, v1
	v_div_scale_f32 v4, vcc, 1.0, v5, 1.0
	v_fma_f32 v6, -v1, v2, 1.0
	v_fmac_f32_e32 v2, v6, v2
	v_mul_f32_e32 v6, v4, v2
	v_fma_f32 v7, -v1, v6, v4
	v_fmac_f32_e32 v6, v7, v2
	v_fma_f32 v1, -v1, v6, v4
	v_div_fmas_f32 v1, v1, v2, v6
	v_div_fixup_f32 v2, v1, v5, 1.0
.LBB5_25:
	v_cvt_f32_f16_sdwa v9, v23 dst_sel:DWORD dst_unused:UNUSED_PAD src0_sel:WORD_1
	v_cvt_f32_f16_e32 v8, v23
	v_cvt_f32_f16_sdwa v11, v3 dst_sel:DWORD dst_unused:UNUSED_PAD src0_sel:WORD_1
	v_cvt_f32_f16_e32 v10, v3
	v_add_u32_e32 v0, s6, v0
	v_lshl_add_u32 v6, v0, 7, v14
	v_mov_b32_e32 v7, 0
	v_lshl_add_u64 v[14:15], v[6:7], 2, s[24:25]
	v_pk_mul_f32 v[6:7], v[2:3], v[8:9] op_sel_hi:[0,1]
	v_pk_mul_f32 v[8:9], v[2:3], v[10:11] op_sel_hi:[0,1]
	global_store_dwordx4 v[14:15], v[6:9], off
	s_and_saveexec_b64 s[2:3], s[0:1]
	s_cbranch_execz .LBB5_27
; %bb.26:
	v_ashrrev_i32_e32 v1, 31, v0
	v_lshl_add_u64 v[0:1], v[0:1], 3, s[26:27]
	v_mov_b32_e32 v4, v13
	global_store_dwordx2 v[0:1], v[4:5], off
.LBB5_27:
	s_endpgm
	.section	.rodata,"a",@progbits
	.p2align	6, 0x0
	.amdhsa_kernel _ZL15flash_attn_tileILi192ELi128ELi1ELi16ELb0EEvPKcS1_S1_S1_S1_PKiPfP15HIP_vector_typeIfLj2EEffffjfiS5_IjLj3EEiiiiiiiiiiiliiliiiiil
		.amdhsa_group_segment_fixed_size 11776
		.amdhsa_private_segment_fixed_size 0
		.amdhsa_kernarg_size 464
		.amdhsa_user_sgpr_count 2
		.amdhsa_user_sgpr_dispatch_ptr 0
		.amdhsa_user_sgpr_queue_ptr 0
		.amdhsa_user_sgpr_kernarg_segment_ptr 1
		.amdhsa_user_sgpr_dispatch_id 0
		.amdhsa_user_sgpr_kernarg_preload_length 0
		.amdhsa_user_sgpr_kernarg_preload_offset 0
		.amdhsa_user_sgpr_private_segment_size 0
		.amdhsa_uses_dynamic_stack 0
		.amdhsa_enable_private_segment 0
		.amdhsa_system_sgpr_workgroup_id_x 1
		.amdhsa_system_sgpr_workgroup_id_y 1
		.amdhsa_system_sgpr_workgroup_id_z 1
		.amdhsa_system_sgpr_workgroup_info 0
		.amdhsa_system_vgpr_workitem_id 1
		.amdhsa_next_free_vgpr 64
		.amdhsa_next_free_sgpr 48
		.amdhsa_accum_offset 64
		.amdhsa_reserve_vcc 1
		.amdhsa_float_round_mode_32 0
		.amdhsa_float_round_mode_16_64 0
		.amdhsa_float_denorm_mode_32 3
		.amdhsa_float_denorm_mode_16_64 3
		.amdhsa_dx10_clamp 1
		.amdhsa_ieee_mode 1
		.amdhsa_fp16_overflow 0
		.amdhsa_tg_split 0
		.amdhsa_exception_fp_ieee_invalid_op 0
		.amdhsa_exception_fp_denorm_src 0
		.amdhsa_exception_fp_ieee_div_zero 0
		.amdhsa_exception_fp_ieee_overflow 0
		.amdhsa_exception_fp_ieee_underflow 0
		.amdhsa_exception_fp_ieee_inexact 0
		.amdhsa_exception_int_div_zero 0
	.end_amdhsa_kernel
	.section	.text._ZL15flash_attn_tileILi192ELi128ELi1ELi16ELb0EEvPKcS1_S1_S1_S1_PKiPfP15HIP_vector_typeIfLj2EEffffjfiS5_IjLj3EEiiiiiiiiiiiliiliiiiil,"axG",@progbits,_ZL15flash_attn_tileILi192ELi128ELi1ELi16ELb0EEvPKcS1_S1_S1_S1_PKiPfP15HIP_vector_typeIfLj2EEffffjfiS5_IjLj3EEiiiiiiiiiiiliiliiiiil,comdat
.Lfunc_end5:
	.size	_ZL15flash_attn_tileILi192ELi128ELi1ELi16ELb0EEvPKcS1_S1_S1_S1_PKiPfP15HIP_vector_typeIfLj2EEffffjfiS5_IjLj3EEiiiiiiiiiiiliiliiiiil, .Lfunc_end5-_ZL15flash_attn_tileILi192ELi128ELi1ELi16ELb0EEvPKcS1_S1_S1_S1_PKiPfP15HIP_vector_typeIfLj2EEffffjfiS5_IjLj3EEiiiiiiiiiiiliiliiiiil
                                        ; -- End function
	.set _ZL15flash_attn_tileILi192ELi128ELi1ELi16ELb0EEvPKcS1_S1_S1_S1_PKiPfP15HIP_vector_typeIfLj2EEffffjfiS5_IjLj3EEiiiiiiiiiiiliiliiiiil.num_vgpr, 64
	.set _ZL15flash_attn_tileILi192ELi128ELi1ELi16ELb0EEvPKcS1_S1_S1_S1_PKiPfP15HIP_vector_typeIfLj2EEffffjfiS5_IjLj3EEiiiiiiiiiiiliiliiiiil.num_agpr, 0
	.set _ZL15flash_attn_tileILi192ELi128ELi1ELi16ELb0EEvPKcS1_S1_S1_S1_PKiPfP15HIP_vector_typeIfLj2EEffffjfiS5_IjLj3EEiiiiiiiiiiiliiliiiiil.numbered_sgpr, 48
	.set _ZL15flash_attn_tileILi192ELi128ELi1ELi16ELb0EEvPKcS1_S1_S1_S1_PKiPfP15HIP_vector_typeIfLj2EEffffjfiS5_IjLj3EEiiiiiiiiiiiliiliiiiil.num_named_barrier, 0
	.set _ZL15flash_attn_tileILi192ELi128ELi1ELi16ELb0EEvPKcS1_S1_S1_S1_PKiPfP15HIP_vector_typeIfLj2EEffffjfiS5_IjLj3EEiiiiiiiiiiiliiliiiiil.private_seg_size, 0
	.set _ZL15flash_attn_tileILi192ELi128ELi1ELi16ELb0EEvPKcS1_S1_S1_S1_PKiPfP15HIP_vector_typeIfLj2EEffffjfiS5_IjLj3EEiiiiiiiiiiiliiliiiiil.uses_vcc, 1
	.set _ZL15flash_attn_tileILi192ELi128ELi1ELi16ELb0EEvPKcS1_S1_S1_S1_PKiPfP15HIP_vector_typeIfLj2EEffffjfiS5_IjLj3EEiiiiiiiiiiiliiliiiiil.uses_flat_scratch, 0
	.set _ZL15flash_attn_tileILi192ELi128ELi1ELi16ELb0EEvPKcS1_S1_S1_S1_PKiPfP15HIP_vector_typeIfLj2EEffffjfiS5_IjLj3EEiiiiiiiiiiiliiliiiiil.has_dyn_sized_stack, 0
	.set _ZL15flash_attn_tileILi192ELi128ELi1ELi16ELb0EEvPKcS1_S1_S1_S1_PKiPfP15HIP_vector_typeIfLj2EEffffjfiS5_IjLj3EEiiiiiiiiiiiliiliiiiil.has_recursion, 0
	.set _ZL15flash_attn_tileILi192ELi128ELi1ELi16ELb0EEvPKcS1_S1_S1_S1_PKiPfP15HIP_vector_typeIfLj2EEffffjfiS5_IjLj3EEiiiiiiiiiiiliiliiiiil.has_indirect_call, 0
	.section	.AMDGPU.csdata,"",@progbits
; Kernel info:
; codeLenInByte = 10392
; TotalNumSgprs: 54
; NumVgprs: 64
; NumAgprs: 0
; TotalNumVgprs: 64
; ScratchSize: 0
; MemoryBound: 0
; FloatMode: 240
; IeeeMode: 1
; LDSByteSize: 11776 bytes/workgroup (compile time only)
; SGPRBlocks: 6
; VGPRBlocks: 7
; NumSGPRsForWavesPerEU: 54
; NumVGPRsForWavesPerEU: 64
; AccumOffset: 64
; Occupancy: 8
; WaveLimiterHint : 1
; COMPUTE_PGM_RSRC2:SCRATCH_EN: 0
; COMPUTE_PGM_RSRC2:USER_SGPR: 2
; COMPUTE_PGM_RSRC2:TRAP_HANDLER: 0
; COMPUTE_PGM_RSRC2:TGID_X_EN: 1
; COMPUTE_PGM_RSRC2:TGID_Y_EN: 1
; COMPUTE_PGM_RSRC2:TGID_Z_EN: 1
; COMPUTE_PGM_RSRC2:TIDIG_COMP_CNT: 1
; COMPUTE_PGM_RSRC3_GFX90A:ACCUM_OFFSET: 15
; COMPUTE_PGM_RSRC3_GFX90A:TG_SPLIT: 0
	.section	.text._ZL25flash_attn_mask_to_KV_maxILi1EEvPK7__half2Piiii,"axG",@progbits,_ZL25flash_attn_mask_to_KV_maxILi1EEvPK7__half2Piiii,comdat
	.globl	_ZL25flash_attn_mask_to_KV_maxILi1EEvPK7__half2Piiii ; -- Begin function _ZL25flash_attn_mask_to_KV_maxILi1EEvPK7__half2Piiii
	.p2align	8
	.type	_ZL25flash_attn_mask_to_KV_maxILi1EEvPK7__half2Piiii,@function
_ZL25flash_attn_mask_to_KV_maxILi1EEvPK7__half2Piiii: ; @_ZL25flash_attn_mask_to_KV_maxILi1EEvPK7__half2Piiii
; %bb.0:
	s_load_dwordx4 s[4:7], s[0:1], 0x0
	v_cmp_gt_u32_e32 vcc, 32, v0
	s_and_saveexec_b64 s[8:9], vcc
; %bb.1:
	v_lshlrev_b32_e32 v1, 2, v0
	v_mov_b32_e32 v2, 1
	ds_write_b32 v1, v2
; %bb.2:
	s_or_b64 exec, exec, s[8:9]
	s_load_dwordx4 s[16:19], s[0:1], 0x10
	s_load_dword s14, s[0:1], 0x20
	v_and_b32_e32 v2, 31, v0
	v_lshlrev_b32_e32 v4, 2, v2
	v_lshrrev_b32_e32 v1, 3, v0
	s_waitcnt lgkmcnt(0)
	s_mul_i32 s0, s18, s3
	s_mul_i32 s1, s17, s2
	s_add_i32 s0, s0, s1
	s_ashr_i32 s1, s0, 31
	s_lshl_b64 s[0:1], s[0:1], 2
	s_add_u32 s8, s4, s0
	s_addc_u32 s9, s5, s1
	v_cmp_eq_u32_e64 s[0:1], 0, v2
	v_mbcnt_lo_u32_b32 v2, -1, 0
	v_mbcnt_hi_u32_b32 v5, -1, v2
	v_and_b32_e32 v2, 0x60, v5
	s_lshl_b32 s15, s16, 8
	s_mov_b64 s[10:11], 0
	v_mov_b32_e32 v3, 0
	s_movk_i32 s16, 0x204
	v_add_u32_e32 v6, 32, v2
	v_xor_b32_e32 v7, 16, v5
	v_xor_b32_e32 v8, 8, v5
	;; [unrolled: 1-line block ×5, first 2 shown]
	s_barrier
                                        ; implicit-def: $sgpr4_sgpr5
	s_branch .LBB6_5
.LBB6_3:                                ;   in Loop: Header=BB6_5 Depth=1
	s_or_b64 exec, exec, s[12:13]
	s_waitcnt lgkmcnt(0)
	s_barrier
	ds_read_b32 v16, v4
	s_waitcnt lgkmcnt(0)
	s_barrier
	ds_bpermute_b32 v2, v2, v16
	v_cmp_ne_u32_e32 vcc, 0, v16
	s_waitcnt lgkmcnt(0)
	v_cmp_ne_u32_e64 s[4:5], 0, v2
	s_and_b64 s[4:5], vcc, s[4:5]
	s_nop 0
	v_cndmask_b32_e64 v2, 0, 1, s[4:5]
	ds_bpermute_b32 v2, v12, v2
	s_waitcnt lgkmcnt(0)
	v_cmp_ne_u32_e32 vcc, 0, v2
	s_and_b64 s[4:5], vcc, s[4:5]
	v_cndmask_b32_e64 v2, 0, 1, s[4:5]
	ds_bpermute_b32 v2, v13, v2
	s_waitcnt lgkmcnt(0)
	v_cmp_ne_u32_e32 vcc, 0, v2
	s_and_b64 s[4:5], vcc, s[4:5]
	;; [unrolled: 5-line block ×3, first 2 shown]
	v_cndmask_b32_e64 v2, 0, 1, s[4:5]
	ds_bpermute_b32 v2, v15, v2
	s_xor_b64 s[4:5], s[4:5], -1
	s_waitcnt lgkmcnt(0)
	v_cmp_eq_u32_e32 vcc, 0, v2
	s_or_b64 s[4:5], vcc, s[4:5]
.LBB6_4:                                ;   in Loop: Header=BB6_5 Depth=1
	s_and_b64 s[12:13], exec, s[4:5]
	s_or_b64 s[10:11], s[12:13], s[10:11]
	v_mov_b32_e32 v2, s15
	s_mov_b32 s15, s17
	s_andn2_b64 exec, exec, s[10:11]
	s_cbranch_execz .LBB6_10
.LBB6_5:                                ; =>This Inner Loop Header: Depth=1
	s_add_i32 s17, s15, 0xffffff00
	s_or_b64 s[4:5], s[4:5], exec
	s_cmp_lt_i32 s17, 0
	s_cbranch_scc1 .LBB6_4
; %bb.6:                                ;   in Loop: Header=BB6_5 Depth=1
	s_lshr_b32 s4, s17, 1
	v_add_u32_e32 v2, s4, v0
	v_lshl_add_u64 v[12:13], v[2:3], 2, s[8:9]
	global_load_dword v2, v[12:13], off
	v_mov_b32_e32 v12, 0
	s_waitcnt vmcnt(0)
	v_cmp_class_f16_e64 s[12:13], v2, s16
	s_and_saveexec_b64 s[4:5], s[12:13]
; %bb.7:                                ;   in Loop: Header=BB6_5 Depth=1
	v_cmp_class_f16_sdwa s[12:13], v2, s16 src0_sel:WORD_1 src1_sel:DWORD
	s_nop 1
	v_cndmask_b32_e64 v12, 0, 1, s[12:13]
; %bb.8:                                ;   in Loop: Header=BB6_5 Depth=1
	s_or_b64 exec, exec, s[4:5]
	v_cmp_lt_i32_e32 vcc, v7, v6
	s_nop 1
	v_cndmask_b32_e32 v2, v5, v7, vcc
	v_lshlrev_b32_e32 v2, 2, v2
	ds_bpermute_b32 v13, v2, v12
	v_cmp_ne_u32_e32 vcc, 0, v12
	s_waitcnt lgkmcnt(0)
	v_cmp_ne_u32_e64 s[4:5], 0, v13
	s_and_b64 s[4:5], vcc, s[4:5]
	v_cmp_lt_i32_e32 vcc, v8, v6
	v_cndmask_b32_e64 v13, 0, 1, s[4:5]
	s_nop 0
	v_cndmask_b32_e32 v12, v5, v8, vcc
	v_lshlrev_b32_e32 v12, 2, v12
	ds_bpermute_b32 v13, v12, v13
	s_waitcnt lgkmcnt(0)
	v_cmp_ne_u32_e32 vcc, 0, v13
	s_and_b64 s[4:5], vcc, s[4:5]
	v_cmp_lt_i32_e32 vcc, v9, v6
	v_cndmask_b32_e64 v14, 0, 1, s[4:5]
	s_nop 0
	v_cndmask_b32_e32 v13, v5, v9, vcc
	v_lshlrev_b32_e32 v13, 2, v13
	ds_bpermute_b32 v14, v13, v14
	s_waitcnt lgkmcnt(0)
	v_cmp_ne_u32_e32 vcc, 0, v14
	;; [unrolled: 9-line block ×3, first 2 shown]
	s_and_b64 s[4:5], vcc, s[4:5]
	v_cmp_lt_i32_e32 vcc, v11, v6
	v_cndmask_b32_e64 v16, 0, 1, s[4:5]
	s_nop 0
	v_cndmask_b32_e32 v15, v5, v11, vcc
	v_lshlrev_b32_e32 v15, 2, v15
	ds_bpermute_b32 v16, v15, v16
	s_and_saveexec_b64 s[12:13], s[0:1]
	s_cbranch_execz .LBB6_3
; %bb.9:                                ;   in Loop: Header=BB6_5 Depth=1
	s_waitcnt lgkmcnt(0)
	v_cmp_ne_u32_e32 vcc, 0, v16
	s_and_b64 s[4:5], vcc, s[4:5]
	v_cndmask_b32_e64 v16, 0, 1, s[4:5]
	ds_write_b32 v1, v16
	s_branch .LBB6_3
.LBB6_10:
	s_or_b64 exec, exec, s[10:11]
	v_cmp_eq_u32_e32 vcc, 0, v0
	s_and_saveexec_b64 s[0:1], vcc
	s_cbranch_execz .LBB6_12
; %bb.11:
	s_mul_i32 s0, s14, s3
	s_add_i32 s0, s0, s2
	s_ashr_i32 s1, s0, 31
	s_lshl_b64 s[0:1], s[0:1], 2
	s_add_u32 s0, s6, s0
	s_addc_u32 s1, s7, s1
	v_mov_b32_e32 v0, 0
	global_store_dword v0, v2, s[0:1]
.LBB6_12:
	s_endpgm
	.section	.rodata,"a",@progbits
	.p2align	6, 0x0
	.amdhsa_kernel _ZL25flash_attn_mask_to_KV_maxILi1EEvPK7__half2Piiii
		.amdhsa_group_segment_fixed_size 128
		.amdhsa_private_segment_fixed_size 0
		.amdhsa_kernarg_size 288
		.amdhsa_user_sgpr_count 2
		.amdhsa_user_sgpr_dispatch_ptr 0
		.amdhsa_user_sgpr_queue_ptr 0
		.amdhsa_user_sgpr_kernarg_segment_ptr 1
		.amdhsa_user_sgpr_dispatch_id 0
		.amdhsa_user_sgpr_kernarg_preload_length 0
		.amdhsa_user_sgpr_kernarg_preload_offset 0
		.amdhsa_user_sgpr_private_segment_size 0
		.amdhsa_uses_dynamic_stack 0
		.amdhsa_enable_private_segment 0
		.amdhsa_system_sgpr_workgroup_id_x 1
		.amdhsa_system_sgpr_workgroup_id_y 1
		.amdhsa_system_sgpr_workgroup_id_z 0
		.amdhsa_system_sgpr_workgroup_info 0
		.amdhsa_system_vgpr_workitem_id 0
		.amdhsa_next_free_vgpr 17
		.amdhsa_next_free_sgpr 20
		.amdhsa_accum_offset 20
		.amdhsa_reserve_vcc 1
		.amdhsa_float_round_mode_32 0
		.amdhsa_float_round_mode_16_64 0
		.amdhsa_float_denorm_mode_32 3
		.amdhsa_float_denorm_mode_16_64 3
		.amdhsa_dx10_clamp 1
		.amdhsa_ieee_mode 1
		.amdhsa_fp16_overflow 0
		.amdhsa_tg_split 0
		.amdhsa_exception_fp_ieee_invalid_op 0
		.amdhsa_exception_fp_denorm_src 0
		.amdhsa_exception_fp_ieee_div_zero 0
		.amdhsa_exception_fp_ieee_overflow 0
		.amdhsa_exception_fp_ieee_underflow 0
		.amdhsa_exception_fp_ieee_inexact 0
		.amdhsa_exception_int_div_zero 0
	.end_amdhsa_kernel
	.section	.text._ZL25flash_attn_mask_to_KV_maxILi1EEvPK7__half2Piiii,"axG",@progbits,_ZL25flash_attn_mask_to_KV_maxILi1EEvPK7__half2Piiii,comdat
.Lfunc_end6:
	.size	_ZL25flash_attn_mask_to_KV_maxILi1EEvPK7__half2Piiii, .Lfunc_end6-_ZL25flash_attn_mask_to_KV_maxILi1EEvPK7__half2Piiii
                                        ; -- End function
	.set _ZL25flash_attn_mask_to_KV_maxILi1EEvPK7__half2Piiii.num_vgpr, 17
	.set _ZL25flash_attn_mask_to_KV_maxILi1EEvPK7__half2Piiii.num_agpr, 0
	.set _ZL25flash_attn_mask_to_KV_maxILi1EEvPK7__half2Piiii.numbered_sgpr, 20
	.set _ZL25flash_attn_mask_to_KV_maxILi1EEvPK7__half2Piiii.num_named_barrier, 0
	.set _ZL25flash_attn_mask_to_KV_maxILi1EEvPK7__half2Piiii.private_seg_size, 0
	.set _ZL25flash_attn_mask_to_KV_maxILi1EEvPK7__half2Piiii.uses_vcc, 1
	.set _ZL25flash_attn_mask_to_KV_maxILi1EEvPK7__half2Piiii.uses_flat_scratch, 0
	.set _ZL25flash_attn_mask_to_KV_maxILi1EEvPK7__half2Piiii.has_dyn_sized_stack, 0
	.set _ZL25flash_attn_mask_to_KV_maxILi1EEvPK7__half2Piiii.has_recursion, 0
	.set _ZL25flash_attn_mask_to_KV_maxILi1EEvPK7__half2Piiii.has_indirect_call, 0
	.section	.AMDGPU.csdata,"",@progbits
; Kernel info:
; codeLenInByte = 768
; TotalNumSgprs: 26
; NumVgprs: 17
; NumAgprs: 0
; TotalNumVgprs: 17
; ScratchSize: 0
; MemoryBound: 0
; FloatMode: 240
; IeeeMode: 1
; LDSByteSize: 128 bytes/workgroup (compile time only)
; SGPRBlocks: 3
; VGPRBlocks: 2
; NumSGPRsForWavesPerEU: 26
; NumVGPRsForWavesPerEU: 17
; AccumOffset: 20
; Occupancy: 8
; WaveLimiterHint : 0
; COMPUTE_PGM_RSRC2:SCRATCH_EN: 0
; COMPUTE_PGM_RSRC2:USER_SGPR: 2
; COMPUTE_PGM_RSRC2:TRAP_HANDLER: 0
; COMPUTE_PGM_RSRC2:TGID_X_EN: 1
; COMPUTE_PGM_RSRC2:TGID_Y_EN: 1
; COMPUTE_PGM_RSRC2:TGID_Z_EN: 0
; COMPUTE_PGM_RSRC2:TIDIG_COMP_CNT: 0
; COMPUTE_PGM_RSRC3_GFX90A:ACCUM_OFFSET: 4
; COMPUTE_PGM_RSRC3_GFX90A:TG_SPLIT: 0
	.section	.text._ZL33flash_attn_stream_k_fixup_uniformILi128ELi1ELi16EEvPfPK15HIP_vector_typeIfLj2EEiiiiiiS1_IjLj3EES5_S5_,"axG",@progbits,_ZL33flash_attn_stream_k_fixup_uniformILi128ELi1ELi16EEvPfPK15HIP_vector_typeIfLj2EEiiiiiiS1_IjLj3EES5_S5_,comdat
	.globl	_ZL33flash_attn_stream_k_fixup_uniformILi128ELi1ELi16EEvPfPK15HIP_vector_typeIfLj2EEiiiiiiS1_IjLj3EES5_S5_ ; -- Begin function _ZL33flash_attn_stream_k_fixup_uniformILi128ELi1ELi16EEvPfPK15HIP_vector_typeIfLj2EEiiiiiiS1_IjLj3EES5_S5_
	.p2align	8
	.type	_ZL33flash_attn_stream_k_fixup_uniformILi128ELi1ELi16EEvPfPK15HIP_vector_typeIfLj2EEiiiiiiS1_IjLj3EES5_S5_,@function
_ZL33flash_attn_stream_k_fixup_uniformILi128ELi1ELi16EEvPfPK15HIP_vector_typeIfLj2EEiiiiiiS1_IjLj3EES5_S5_: ; @_ZL33flash_attn_stream_k_fixup_uniformILi128ELi1ELi16EEvPfPK15HIP_vector_typeIfLj2EEiiiiiiS1_IjLj3EES5_S5_
; %bb.0:
	s_load_dwordx8 s[8:15], s[0:1], 0x1c
	s_load_dwordx2 s[6:7], s[0:1], 0x10
	s_load_dwordx4 s[16:19], s[0:1], 0x3c
	s_waitcnt lgkmcnt(0)
	s_mul_hi_u32 s5, s11, s2
	s_add_i32 s5, s2, s5
	s_lshr_b32 s5, s5, s12
	s_mul_i32 s11, s5, s13
	s_sub_i32 s12, s2, s11
	s_mul_hi_u32 s11, s12, s14
	s_add_i32 s11, s12, s11
	s_lshr_b32 s11, s11, s15
	s_mul_i32 s13, s11, s16
	s_sub_i32 s12, s12, s13
	;; [unrolled: 5-line block ×3, first 2 shown]
	s_lshl_b32 s16, s13, 4
	s_add_i32 s17, s17, s3
	s_cmp_lt_i32 s17, s6
	s_cselect_b64 s[12:13], -1, 0
	s_add_i32 s16, s16, s4
	s_cmp_lt_i32 s16, s9
	s_cselect_b64 s[14:15], -1, 0
	s_and_b64 s[12:13], s[12:13], s[14:15]
	s_andn2_b64 vcc, exec, s[12:13]
	s_cbranch_vccnz .LBB7_6
; %bb.1:
	s_load_dwordx4 s[12:15], s[0:1], 0x0
	s_mul_i32 s5, s5, s6
	s_mul_i32 s11, s11, s9
	s_add_i32 s0, s17, s5
	s_mul_i32 s0, s0, s7
	s_add_i32 s1, s16, s11
	s_add_i32 s1, s1, s0
	v_lshl_or_b32 v4, s1, 7, v0
	s_waitcnt lgkmcnt(0)
	v_mov_b32_e32 v2, s12
	v_mov_b32_e32 v3, s13
	v_ashrrev_i32_e32 v5, 31, v4
	v_lshl_add_u64 v[2:3], v[4:5], 2, v[2:3]
	global_load_dword v5, v[2:3], off
	s_mul_i32 s9, s10, s2
	s_add_i32 s5, s9, s10
	s_add_i32 s0, s3, s5
	s_lshl_b32 s0, s0, 4
	s_add_i32 s0, s0, s4
	s_add_i32 s0, s0, -16
	s_ashr_i32 s1, s0, 31
	s_lshl_b64 s[0:1], s[0:1], 3
	s_add_u32 s0, s14, s0
	s_addc_u32 s1, s15, s1
	s_load_dword s12, s[0:1], 0x4
	s_add_i32 s6, s5, -2
	s_cmp_lt_i32 s6, s9
	s_cbranch_scc1 .LBB7_4
; %bb.2:
	s_lshl_b32 s6, s8, 6
	s_ashr_i32 s7, s6, 31
	s_lshl_b64 s[6:7], s[6:7], 2
	s_add_u32 s6, s14, s6
	s_addc_u32 s7, s15, s7
	s_load_dword s0, s[0:1], 0x0
	s_add_i32 s2, s2, 1
	s_lshl_b32 s1, s4, 7
	s_add_i32 s8, s3, s8
	s_mul_i32 s2, s10, s2
	s_lshl_b32 s3, s3, 11
	s_add_i32 s8, s8, s5
	s_lshl_b32 s2, s2, 11
	s_add_i32 s1, s1, s3
	s_add_i32 s11, s5, -1
	s_lshl_b32 s5, s8, 4
	s_add_i32 s1, s1, s2
	s_add_i32 s4, s4, s5
	v_or_b32_e32 v0, s1, v0
	s_sub_i32 s4, s4, 32
	v_add_u32_e32 v0, 0xfffff000, v0
	s_waitcnt lgkmcnt(0)
	v_mov_b32_e32 v7, s0
	v_mov_b32_e32 v4, s12
	s_mov_b32 s2, 0x3fb8aa3b
	s_mov_b32 s3, 0xc2ce8ed0
	;; [unrolled: 1-line block ×3, first 2 shown]
	v_mov_b32_e32 v6, 0x7f800000
	s_mov_b32 s10, 0xc1a00000
.LBB7_3:                                ; =>This Inner Loop Header: Depth=1
	v_ashrrev_i32_e32 v1, 31, v0
	v_lshl_add_u64 v[8:9], v[0:1], 2, s[6:7]
	global_load_dword v9, v[8:9], off
	s_ashr_i32 s5, s4, 31
	s_lshl_b64 s[0:1], s[4:5], 3
	s_add_u32 s0, s14, s0
	s_addc_u32 s1, s15, s1
	s_load_dwordx2 s[0:1], s[0:1], 0x0
	v_max_f32_e32 v1, v7, v7
	s_add_i32 s11, s11, -1
	s_add_i32 s4, s4, -16
	v_add_u32_e32 v0, 0xfffff800, v0
	s_waitcnt lgkmcnt(0)
	v_max_f32_e64 v10, s0, s0
	v_max_f32_e32 v1, v1, v10
	v_sub_f32_e32 v11, s0, v1
	v_sub_f32_e32 v10, v7, v1
	v_mul_f32_e32 v12, 0x3fb8aa3b, v11
	v_mov_b32_e32 v7, v1
	v_mul_f32_e32 v1, 0x3fb8aa3b, v10
	v_fma_f32 v15, v11, s2, -v12
	v_rndne_f32_e32 v16, v12
	v_fma_f32 v13, v10, s2, -v1
	v_rndne_f32_e32 v14, v1
	v_fmac_f32_e32 v15, 0x32a5705f, v11
	v_sub_f32_e32 v12, v12, v16
	v_fmac_f32_e32 v13, 0x32a5705f, v10
	v_sub_f32_e32 v1, v1, v14
	v_add_f32_e32 v12, v12, v15
	v_cvt_i32_f32_e32 v16, v16
	v_add_f32_e32 v1, v1, v13
	v_exp_f32_e32 v12, v12
	v_cvt_i32_f32_e32 v14, v14
	v_exp_f32_e32 v1, v1
	v_cmp_ngt_f32_e32 vcc, s3, v11
	v_ldexp_f32 v12, v12, v16
	v_mov_b32_e32 v8, s1
	v_ldexp_f32 v1, v1, v14
	v_cmp_ngt_f32_e64 s[0:1], s3, v10
	v_cndmask_b32_e32 v12, 0, v12, vcc
	v_cmp_nlt_f32_e32 vcc, s8, v11
	v_cndmask_b32_e64 v1, 0, v1, s[0:1]
	v_cmp_nlt_f32_e64 s[0:1], s8, v10
	v_cndmask_b32_e32 v12, v6, v12, vcc
	v_cmp_le_f32_e32 vcc, s10, v11
	v_cndmask_b32_e64 v1, v6, v1, s[0:1]
	v_cmp_le_f32_e64 s[0:1], s10, v10
	v_cndmask_b32_e32 v12, 0, v12, vcc
	s_cmp_le_i32 s11, s9
	v_cndmask_b32_e64 v10, 0, v1, s[0:1]
	s_waitcnt vmcnt(0)
	v_pk_mul_f32 v[8:9], v[8:9], v[12:13] op_sel_hi:[1,0]
	s_nop 0
	v_pk_fma_f32 v[4:5], v[4:5], v[10:11], v[8:9] op_sel_hi:[1,0,1]
	s_cbranch_scc0 .LBB7_3
	s_branch .LBB7_5
.LBB7_4:
	s_waitcnt lgkmcnt(0)
	v_mov_b32_e32 v4, s12
.LBB7_5:
	s_waitcnt vmcnt(0)
	v_div_scale_f32 v0, s[0:1], v4, v4, v5
	v_rcp_f32_e32 v1, v0
	v_div_scale_f32 v6, vcc, v5, v4, v5
	v_fma_f32 v7, -v0, v1, 1.0
	v_fmac_f32_e32 v1, v7, v1
	v_mul_f32_e32 v7, v6, v1
	v_fma_f32 v8, -v0, v7, v6
	v_fmac_f32_e32 v7, v8, v1
	v_fma_f32 v0, -v0, v7, v6
	v_div_fmas_f32 v0, v0, v1, v7
	v_div_fixup_f32 v0, v0, v4, v5
	global_store_dword v[2:3], v0, off
.LBB7_6:
	s_endpgm
	.section	.rodata,"a",@progbits
	.p2align	6, 0x0
	.amdhsa_kernel _ZL33flash_attn_stream_k_fixup_uniformILi128ELi1ELi16EEvPfPK15HIP_vector_typeIfLj2EEiiiiiiS1_IjLj3EES5_S5_
		.amdhsa_group_segment_fixed_size 0
		.amdhsa_private_segment_fixed_size 0
		.amdhsa_kernarg_size 76
		.amdhsa_user_sgpr_count 2
		.amdhsa_user_sgpr_dispatch_ptr 0
		.amdhsa_user_sgpr_queue_ptr 0
		.amdhsa_user_sgpr_kernarg_segment_ptr 1
		.amdhsa_user_sgpr_dispatch_id 0
		.amdhsa_user_sgpr_kernarg_preload_length 0
		.amdhsa_user_sgpr_kernarg_preload_offset 0
		.amdhsa_user_sgpr_private_segment_size 0
		.amdhsa_uses_dynamic_stack 0
		.amdhsa_enable_private_segment 0
		.amdhsa_system_sgpr_workgroup_id_x 1
		.amdhsa_system_sgpr_workgroup_id_y 1
		.amdhsa_system_sgpr_workgroup_id_z 1
		.amdhsa_system_sgpr_workgroup_info 0
		.amdhsa_system_vgpr_workitem_id 0
		.amdhsa_next_free_vgpr 17
		.amdhsa_next_free_sgpr 20
		.amdhsa_accum_offset 20
		.amdhsa_reserve_vcc 1
		.amdhsa_float_round_mode_32 0
		.amdhsa_float_round_mode_16_64 0
		.amdhsa_float_denorm_mode_32 3
		.amdhsa_float_denorm_mode_16_64 3
		.amdhsa_dx10_clamp 1
		.amdhsa_ieee_mode 1
		.amdhsa_fp16_overflow 0
		.amdhsa_tg_split 0
		.amdhsa_exception_fp_ieee_invalid_op 0
		.amdhsa_exception_fp_denorm_src 0
		.amdhsa_exception_fp_ieee_div_zero 0
		.amdhsa_exception_fp_ieee_overflow 0
		.amdhsa_exception_fp_ieee_underflow 0
		.amdhsa_exception_fp_ieee_inexact 0
		.amdhsa_exception_int_div_zero 0
	.end_amdhsa_kernel
	.section	.text._ZL33flash_attn_stream_k_fixup_uniformILi128ELi1ELi16EEvPfPK15HIP_vector_typeIfLj2EEiiiiiiS1_IjLj3EES5_S5_,"axG",@progbits,_ZL33flash_attn_stream_k_fixup_uniformILi128ELi1ELi16EEvPfPK15HIP_vector_typeIfLj2EEiiiiiiS1_IjLj3EES5_S5_,comdat
.Lfunc_end7:
	.size	_ZL33flash_attn_stream_k_fixup_uniformILi128ELi1ELi16EEvPfPK15HIP_vector_typeIfLj2EEiiiiiiS1_IjLj3EES5_S5_, .Lfunc_end7-_ZL33flash_attn_stream_k_fixup_uniformILi128ELi1ELi16EEvPfPK15HIP_vector_typeIfLj2EEiiiiiiS1_IjLj3EES5_S5_
                                        ; -- End function
	.set _ZL33flash_attn_stream_k_fixup_uniformILi128ELi1ELi16EEvPfPK15HIP_vector_typeIfLj2EEiiiiiiS1_IjLj3EES5_S5_.num_vgpr, 17
	.set _ZL33flash_attn_stream_k_fixup_uniformILi128ELi1ELi16EEvPfPK15HIP_vector_typeIfLj2EEiiiiiiS1_IjLj3EES5_S5_.num_agpr, 0
	.set _ZL33flash_attn_stream_k_fixup_uniformILi128ELi1ELi16EEvPfPK15HIP_vector_typeIfLj2EEiiiiiiS1_IjLj3EES5_S5_.numbered_sgpr, 20
	.set _ZL33flash_attn_stream_k_fixup_uniformILi128ELi1ELi16EEvPfPK15HIP_vector_typeIfLj2EEiiiiiiS1_IjLj3EES5_S5_.num_named_barrier, 0
	.set _ZL33flash_attn_stream_k_fixup_uniformILi128ELi1ELi16EEvPfPK15HIP_vector_typeIfLj2EEiiiiiiS1_IjLj3EES5_S5_.private_seg_size, 0
	.set _ZL33flash_attn_stream_k_fixup_uniformILi128ELi1ELi16EEvPfPK15HIP_vector_typeIfLj2EEiiiiiiS1_IjLj3EES5_S5_.uses_vcc, 1
	.set _ZL33flash_attn_stream_k_fixup_uniformILi128ELi1ELi16EEvPfPK15HIP_vector_typeIfLj2EEiiiiiiS1_IjLj3EES5_S5_.uses_flat_scratch, 0
	.set _ZL33flash_attn_stream_k_fixup_uniformILi128ELi1ELi16EEvPfPK15HIP_vector_typeIfLj2EEiiiiiiS1_IjLj3EES5_S5_.has_dyn_sized_stack, 0
	.set _ZL33flash_attn_stream_k_fixup_uniformILi128ELi1ELi16EEvPfPK15HIP_vector_typeIfLj2EEiiiiiiS1_IjLj3EES5_S5_.has_recursion, 0
	.set _ZL33flash_attn_stream_k_fixup_uniformILi128ELi1ELi16EEvPfPK15HIP_vector_typeIfLj2EEiiiiiiS1_IjLj3EES5_S5_.has_indirect_call, 0
	.section	.AMDGPU.csdata,"",@progbits
; Kernel info:
; codeLenInByte = 808
; TotalNumSgprs: 26
; NumVgprs: 17
; NumAgprs: 0
; TotalNumVgprs: 17
; ScratchSize: 0
; MemoryBound: 0
; FloatMode: 240
; IeeeMode: 1
; LDSByteSize: 0 bytes/workgroup (compile time only)
; SGPRBlocks: 3
; VGPRBlocks: 2
; NumSGPRsForWavesPerEU: 26
; NumVGPRsForWavesPerEU: 17
; AccumOffset: 20
; Occupancy: 8
; WaveLimiterHint : 0
; COMPUTE_PGM_RSRC2:SCRATCH_EN: 0
; COMPUTE_PGM_RSRC2:USER_SGPR: 2
; COMPUTE_PGM_RSRC2:TRAP_HANDLER: 0
; COMPUTE_PGM_RSRC2:TGID_X_EN: 1
; COMPUTE_PGM_RSRC2:TGID_Y_EN: 1
; COMPUTE_PGM_RSRC2:TGID_Z_EN: 1
; COMPUTE_PGM_RSRC2:TIDIG_COMP_CNT: 0
; COMPUTE_PGM_RSRC3_GFX90A:ACCUM_OFFSET: 4
; COMPUTE_PGM_RSRC3_GFX90A:TG_SPLIT: 0
	.section	.text._ZL33flash_attn_stream_k_fixup_generalILi128ELi1ELi16EEvPfPK15HIP_vector_typeIfLj2EEiiiiS1_IjLj3EES5_S5_S5_,"axG",@progbits,_ZL33flash_attn_stream_k_fixup_generalILi128ELi1ELi16EEvPfPK15HIP_vector_typeIfLj2EEiiiiS1_IjLj3EES5_S5_S5_,comdat
	.globl	_ZL33flash_attn_stream_k_fixup_generalILi128ELi1ELi16EEvPfPK15HIP_vector_typeIfLj2EEiiiiS1_IjLj3EES5_S5_S5_ ; -- Begin function _ZL33flash_attn_stream_k_fixup_generalILi128ELi1ELi16EEvPfPK15HIP_vector_typeIfLj2EEiiiiS1_IjLj3EES5_S5_S5_
	.p2align	8
	.type	_ZL33flash_attn_stream_k_fixup_generalILi128ELi1ELi16EEvPfPK15HIP_vector_typeIfLj2EEiiiiS1_IjLj3EES5_S5_S5_,@function
_ZL33flash_attn_stream_k_fixup_generalILi128ELi1ELi16EEvPfPK15HIP_vector_typeIfLj2EEiiiiS1_IjLj3EES5_S5_S5_: ; @_ZL33flash_attn_stream_k_fixup_generalILi128ELi1ELi16EEvPfPK15HIP_vector_typeIfLj2EEiiiiS1_IjLj3EES5_S5_S5_
; %bb.0:
	s_load_dwordx4 s[8:11], s[0:1], 0x10
	s_load_dword s5, s[0:1], 0x50
	s_mov_b32 s12, 0
	s_waitcnt lgkmcnt(0)
	s_mul_hi_i32 s13, s11, s2
	s_cmp_lg_u64 s[12:13], 0
	s_mul_i32 s18, s11, s2
	s_cbranch_scc0 .LBB8_20
; %bb.1:
	s_add_u32 s6, s5, 0
	s_addc_u32 s7, 0, 0
	s_xor_b64 s[6:7], s[6:7], 0
	v_cvt_f32_u32_e32 v1, s6
	v_cvt_f32_u32_e32 v2, s7
	s_sub_u32 s12, 0, s6
	s_subb_u32 s19, 0, s7
	v_fmamk_f32 v1, v2, 0x4f800000, v1
	v_rcp_f32_e32 v1, v1
	s_nop 0
	v_mul_f32_e32 v1, 0x5f7ffffc, v1
	v_mul_f32_e32 v2, 0x2f800000, v1
	v_trunc_f32_e32 v2, v2
	v_fmamk_f32 v1, v2, 0xcf800000, v1
	v_cvt_u32_f32_e32 v2, v2
	v_cvt_u32_f32_e32 v1, v1
	v_readfirstlane_b32 s20, v2
	v_readfirstlane_b32 s14, v1
	s_mul_i32 s15, s12, s20
	s_mul_hi_u32 s22, s12, s14
	s_mul_i32 s21, s19, s14
	s_add_i32 s15, s22, s15
	s_add_i32 s15, s15, s21
	s_mul_i32 s23, s12, s14
	s_mul_i32 s22, s14, s15
	s_mul_hi_u32 s24, s14, s23
	s_mul_hi_u32 s21, s14, s15
	s_add_u32 s22, s24, s22
	s_addc_u32 s21, 0, s21
	s_mul_hi_u32 s25, s20, s23
	s_mul_i32 s23, s20, s23
	s_add_u32 s22, s22, s23
	s_mul_hi_u32 s24, s20, s15
	s_addc_u32 s21, s21, s25
	s_addc_u32 s22, s24, 0
	s_mul_i32 s15, s20, s15
	s_add_u32 s15, s21, s15
	s_addc_u32 s21, 0, s22
	s_add_u32 s22, s14, s15
	s_cselect_b64 s[14:15], -1, 0
	s_cmp_lg_u64 s[14:15], 0
	s_addc_u32 s20, s20, s21
	s_mul_i32 s14, s12, s20
	s_mul_hi_u32 s15, s12, s22
	s_add_i32 s14, s15, s14
	s_mul_i32 s19, s19, s22
	s_add_i32 s14, s14, s19
	s_mul_i32 s12, s12, s22
	s_mul_hi_u32 s19, s20, s12
	s_mul_i32 s21, s20, s12
	s_mul_i32 s24, s22, s14
	s_mul_hi_u32 s12, s22, s12
	s_mul_hi_u32 s23, s22, s14
	s_add_u32 s12, s12, s24
	s_addc_u32 s23, 0, s23
	s_add_u32 s12, s12, s21
	s_mul_hi_u32 s15, s20, s14
	s_addc_u32 s12, s23, s19
	s_addc_u32 s15, s15, 0
	s_mul_i32 s14, s20, s14
	s_add_u32 s12, s12, s14
	s_addc_u32 s19, 0, s15
	s_add_u32 s21, s22, s12
	s_cselect_b64 s[14:15], -1, 0
	s_cmp_lg_u64 s[14:15], 0
	s_addc_u32 s19, s20, s19
	s_ashr_i32 s14, s13, 31
	s_add_u32 s12, s18, s14
	s_mov_b32 s15, s14
	s_addc_u32 s13, s13, s14
	s_xor_b64 s[12:13], s[12:13], s[14:15]
	s_mul_i32 s22, s12, s19
	s_mul_hi_u32 s23, s12, s21
	s_mul_hi_u32 s20, s12, s19
	s_add_u32 s22, s23, s22
	s_addc_u32 s20, 0, s20
	s_mul_hi_u32 s24, s13, s21
	s_mul_i32 s21, s13, s21
	s_add_u32 s21, s22, s21
	s_mul_hi_u32 s23, s13, s19
	s_addc_u32 s20, s20, s24
	s_addc_u32 s21, s23, 0
	s_mul_i32 s19, s13, s19
	s_add_u32 s19, s20, s19
	s_addc_u32 s24, 0, s21
	s_mul_i32 s20, s6, s24
	s_mul_hi_u32 s21, s6, s19
	s_add_i32 s20, s21, s20
	s_mul_i32 s21, s7, s19
	s_add_i32 s25, s20, s21
	s_sub_i32 s22, s13, s25
	s_mul_i32 s20, s6, s19
	s_sub_u32 s12, s12, s20
	s_cselect_b64 s[20:21], -1, 0
	s_cmp_lg_u64 s[20:21], 0
	s_subb_u32 s26, s22, s7
	s_sub_u32 s27, s12, s6
	s_cselect_b64 s[22:23], -1, 0
	s_cmp_lg_u64 s[22:23], 0
	s_subb_u32 s22, s26, 0
	s_cmp_ge_u32 s22, s7
	s_cselect_b32 s23, -1, 0
	s_cmp_ge_u32 s27, s6
	s_cselect_b32 s26, -1, 0
	s_cmp_eq_u32 s22, s7
	s_cselect_b32 s22, s26, s23
	s_add_u32 s23, s19, 1
	s_addc_u32 s26, s24, 0
	s_add_u32 s27, s19, 2
	s_addc_u32 s28, s24, 0
	s_cmp_lg_u32 s22, 0
	s_cselect_b32 s22, s27, s23
	s_cselect_b32 s23, s28, s26
	s_cmp_lg_u64 s[20:21], 0
	s_subb_u32 s13, s13, s25
	s_cmp_ge_u32 s13, s7
	s_cselect_b32 s20, -1, 0
	s_cmp_ge_u32 s12, s6
	s_cselect_b32 s6, -1, 0
	s_cmp_eq_u32 s13, s7
	s_cselect_b32 s6, s6, s20
	s_cmp_lg_u32 s6, 0
	s_cselect_b32 s7, s23, s24
	s_cselect_b32 s6, s22, s19
	s_xor_b64 s[12:13], s[14:15], 0
	s_xor_b64 s[6:7], s[6:7], s[12:13]
	s_sub_u32 s6, s6, s12
	s_load_dwordx4 s[12:15], s[0:1], 0x44
	s_cbranch_execnz .LBB8_3
.LBB8_2:
	v_cvt_f32_u32_e32 v1, s5
	s_sub_i32 s6, 0, s5
	v_rcp_iflag_f32_e32 v1, v1
	s_nop 0
	v_mul_f32_e32 v1, 0x4f7ffffe, v1
	v_cvt_u32_f32_e32 v1, v1
	s_nop 0
	v_readfirstlane_b32 s7, v1
	s_mul_i32 s6, s6, s7
	s_mul_hi_u32 s6, s7, s6
	s_add_i32 s7, s7, s6
	s_mul_hi_u32 s6, s18, s7
	s_waitcnt lgkmcnt(0)
	s_mul_i32 s15, s6, s5
	s_sub_i32 s15, s18, s15
	s_add_i32 s7, s6, 1
	s_sub_i32 s16, s15, s5
	s_cmp_ge_u32 s15, s5
	s_cselect_b32 s6, s7, s6
	s_cselect_b32 s15, s16, s15
	s_add_i32 s7, s6, 1
	s_cmp_ge_u32 s15, s5
	s_cselect_b32 s6, s7, s6
.LBB8_3:
	s_add_i32 s7, s2, 1
	s_mul_hi_i32 s21, s11, s7
	s_mov_b32 s20, 0
	s_cmp_lg_u64 s[20:21], 0
	s_mul_i32 s7, s11, s7
	s_cbranch_scc0 .LBB8_21
; %bb.4:
	s_add_u32 s16, s5, 0
	s_addc_u32 s17, 0, 0
	s_xor_b64 s[18:19], s[16:17], 0
	v_cvt_f32_u32_e32 v1, s18
	v_cvt_f32_u32_e32 v2, s19
	s_waitcnt lgkmcnt(0)
	s_sub_u32 s15, 0, s18
	s_subb_u32 s20, 0, s19
	v_fmamk_f32 v1, v2, 0x4f800000, v1
	v_rcp_f32_e32 v1, v1
	s_nop 0
	v_mul_f32_e32 v1, 0x5f7ffffc, v1
	v_mul_f32_e32 v2, 0x2f800000, v1
	v_trunc_f32_e32 v2, v2
	v_fmamk_f32 v1, v2, 0xcf800000, v1
	v_cvt_u32_f32_e32 v2, v2
	v_cvt_u32_f32_e32 v1, v1
	v_readfirstlane_b32 s24, v2
	v_readfirstlane_b32 s22, v1
	s_mul_i32 s23, s15, s24
	s_mul_hi_u32 s26, s15, s22
	s_mul_i32 s25, s20, s22
	s_add_i32 s23, s26, s23
	s_add_i32 s23, s23, s25
	s_mul_i32 s27, s15, s22
	s_mul_i32 s26, s22, s23
	s_mul_hi_u32 s28, s22, s27
	s_mul_hi_u32 s25, s22, s23
	s_add_u32 s26, s28, s26
	s_addc_u32 s25, 0, s25
	s_mul_hi_u32 s29, s24, s27
	s_mul_i32 s27, s24, s27
	s_add_u32 s26, s26, s27
	s_mul_hi_u32 s28, s24, s23
	s_addc_u32 s25, s25, s29
	s_addc_u32 s26, s28, 0
	s_mul_i32 s23, s24, s23
	s_add_u32 s23, s25, s23
	s_addc_u32 s25, 0, s26
	s_add_u32 s26, s22, s23
	s_cselect_b64 s[22:23], -1, 0
	s_cmp_lg_u64 s[22:23], 0
	s_addc_u32 s24, s24, s25
	s_mul_i32 s22, s15, s24
	s_mul_hi_u32 s23, s15, s26
	s_add_i32 s22, s23, s22
	s_mul_i32 s20, s20, s26
	s_add_i32 s22, s22, s20
	s_mul_i32 s15, s15, s26
	s_mul_hi_u32 s23, s24, s15
	s_mul_i32 s25, s24, s15
	s_mul_i32 s28, s26, s22
	s_mul_hi_u32 s15, s26, s15
	s_mul_hi_u32 s27, s26, s22
	s_add_u32 s15, s15, s28
	s_addc_u32 s27, 0, s27
	s_add_u32 s15, s15, s25
	s_mul_hi_u32 s20, s24, s22
	s_addc_u32 s15, s27, s23
	s_addc_u32 s20, s20, 0
	s_mul_i32 s22, s24, s22
	s_add_u32 s15, s15, s22
	s_addc_u32 s20, 0, s20
	s_add_u32 s15, s26, s15
	s_cselect_b64 s[22:23], -1, 0
	s_cmp_lg_u64 s[22:23], 0
	s_addc_u32 s24, s24, s20
	s_ashr_i32 s22, s21, 31
	s_add_u32 s20, s7, s22
	s_mov_b32 s23, s22
	s_addc_u32 s21, s21, s22
	s_xor_b64 s[20:21], s[20:21], s[22:23]
	s_mul_i32 s26, s20, s24
	s_mul_hi_u32 s27, s20, s15
	s_mul_hi_u32 s25, s20, s24
	s_add_u32 s26, s27, s26
	s_addc_u32 s25, 0, s25
	s_mul_hi_u32 s28, s21, s15
	s_mul_i32 s15, s21, s15
	s_add_u32 s15, s26, s15
	s_mul_hi_u32 s27, s21, s24
	s_addc_u32 s15, s25, s28
	s_addc_u32 s25, s27, 0
	s_mul_i32 s24, s21, s24
	s_add_u32 s15, s15, s24
	s_addc_u32 s28, 0, s25
	s_mul_i32 s24, s18, s28
	s_mul_hi_u32 s25, s18, s15
	s_add_i32 s24, s25, s24
	s_mul_i32 s25, s19, s15
	s_add_i32 s29, s24, s25
	s_sub_i32 s26, s21, s29
	s_mul_i32 s24, s18, s15
	s_sub_u32 s20, s20, s24
	s_cselect_b64 s[24:25], -1, 0
	s_cmp_lg_u64 s[24:25], 0
	s_subb_u32 s30, s26, s19
	s_sub_u32 s31, s20, s18
	s_cselect_b64 s[26:27], -1, 0
	s_cmp_lg_u64 s[26:27], 0
	s_subb_u32 s26, s30, 0
	s_cmp_ge_u32 s26, s19
	s_cselect_b32 s27, -1, 0
	s_cmp_ge_u32 s31, s18
	s_cselect_b32 s30, -1, 0
	s_cmp_eq_u32 s26, s19
	s_cselect_b32 s26, s30, s27
	s_add_u32 s27, s15, 1
	s_addc_u32 s30, s28, 0
	s_add_u32 s31, s15, 2
	s_addc_u32 s33, s28, 0
	s_cmp_lg_u32 s26, 0
	s_cselect_b32 s26, s31, s27
	s_cselect_b32 s27, s33, s30
	s_cmp_lg_u64 s[24:25], 0
	s_subb_u32 s21, s21, s29
	s_cmp_ge_u32 s21, s19
	s_cselect_b32 s24, -1, 0
	s_cmp_ge_u32 s20, s18
	s_cselect_b32 s18, -1, 0
	s_cmp_eq_u32 s21, s19
	s_cselect_b32 s18, s18, s24
	s_cmp_lg_u32 s18, 0
	s_cselect_b32 s19, s27, s28
	s_cselect_b32 s18, s26, s15
	s_xor_b64 s[20:21], s[22:23], 0
	s_xor_b64 s[18:19], s[18:19], s[20:21]
	s_sub_u32 s18, s18, s20
	s_cbranch_execnz .LBB8_6
.LBB8_5:
	v_cvt_f32_u32_e32 v1, s5
	s_waitcnt lgkmcnt(0)
	s_sub_i32 s15, 0, s5
	v_rcp_iflag_f32_e32 v1, v1
	s_nop 0
	v_mul_f32_e32 v1, 0x4f7ffffe, v1
	v_cvt_u32_f32_e32 v1, v1
	s_nop 0
	v_readfirstlane_b32 s16, v1
	s_mul_i32 s15, s15, s16
	s_mul_hi_u32 s15, s16, s15
	s_add_i32 s16, s16, s15
	s_mul_hi_u32 s15, s7, s16
	s_mul_i32 s17, s15, s5
	s_sub_i32 s7, s7, s17
	s_add_i32 s16, s15, 1
	s_sub_i32 s17, s7, s5
	s_cmp_ge_u32 s7, s5
	s_cselect_b32 s15, s16, s15
	s_cselect_b32 s7, s17, s7
	s_add_i32 s16, s15, 1
	s_cmp_ge_u32 s7, s5
	s_cselect_b32 s18, s16, s15
.LBB8_6:
	s_cmp_eq_u32 s6, s18
	s_waitcnt lgkmcnt(0)
	s_mul_hi_u32 s7, s6, s12
	s_cselect_b64 s[16:17], -1, 0
	s_add_i32 s7, s7, s6
	s_lshr_b32 s7, s7, s13
	s_mul_i32 s15, s7, s14
	s_cmp_eq_u32 s15, s6
	s_mul_hi_u32 s15, s18, s12
	s_cselect_b64 s[20:21], -1, 0
	s_add_i32 s15, s15, s18
	s_lshr_b32 s15, s15, s13
	s_cmp_eq_u32 s7, s15
	s_mul_i32 s15, s15, s14
	s_cselect_b64 s[22:23], -1, 0
	s_cmp_lg_u32 s15, s18
	s_cselect_b64 s[18:19], -1, 0
	s_and_b64 s[18:19], s[22:23], s[18:19]
	s_or_b64 s[16:17], s[16:17], s[20:21]
	s_or_b64 s[16:17], s[16:17], s[18:19]
	s_and_b64 vcc, exec, s[16:17]
	s_cbranch_vccnz .LBB8_23
; %bb.7:
	s_load_dwordx8 s[16:23], s[0:1], 0x20
	s_load_dword s24, s[0:1], 0x40
	s_waitcnt lgkmcnt(0)
	s_mul_hi_u32 s15, s6, s16
	s_add_i32 s15, s15, s6
	s_lshr_b32 s15, s15, s17
	s_mul_i32 s16, s15, s18
	s_sub_i32 s16, s6, s16
	s_mul_hi_u32 s17, s16, s19
	s_add_i32 s17, s16, s17
	s_lshr_b32 s20, s17, s20
	s_mul_i32 s17, s20, s21
	s_sub_i32 s16, s16, s17
	;; [unrolled: 5-line block ×3, first 2 shown]
	s_lshl_b32 s22, s17, 4
	s_mul_hi_u32 s17, s16, s12
	s_add_i32 s16, s16, s17
	s_lshr_b32 s21, s16, s13
	s_add_i32 s21, s21, s3
	s_cmp_lt_i32 s21, s8
	s_cselect_b64 s[16:17], -1, 0
	s_add_i32 s22, s22, s4
	s_cmp_lt_i32 s22, s10
	s_cselect_b64 s[18:19], -1, 0
	s_and_b64 s[16:17], s[16:17], s[18:19]
	s_andn2_b64 vcc, exec, s[16:17]
	s_cbranch_vccnz .LBB8_23
; %bb.8:
	s_load_dwordx4 s[16:19], s[0:1], 0x0
	s_mov_b32 s0, 0
	s_lshl_b32 s24, s5, 6
	s_mov_b32 s25, s0
	s_mul_i32 s15, s15, s8
	s_waitcnt lgkmcnt(0)
	v_mov_b32_e32 v2, s16
	v_mov_b32_e32 v3, s17
	s_lshl_b64 s[16:17], s[24:25], 2
	s_add_u32 s16, s18, s16
	s_addc_u32 s17, s19, s17
	s_mul_i32 s20, s20, s10
	s_add_i32 s1, s21, s15
	s_mul_i32 s1, s1, s9
	s_add_i32 s8, s22, s20
	s_add_i32 s8, s8, s1
	v_lshl_or_b32 v4, s8, 7, v0
	v_ashrrev_i32_e32 v5, 31, v4
	v_lshl_add_u64 v[2:3], v[4:5], 2, v[2:3]
	global_load_dword v1, v[2:3], off
	s_add_i32 s1, s3, s2
	v_cvt_f32_u32_e32 v4, s5
	s_lshl_b32 s1, s1, 4
	s_add_i32 s8, s1, s4
	s_ashr_i32 s9, s8, 31
	s_lshl_b64 s[8:9], s[8:9], 3
	v_rcp_iflag_f32_e32 v4, v4
	s_add_u32 s8, s18, s8
	s_addc_u32 s9, s19, s9
	s_load_dwordx2 s[8:9], s[8:9], 0x0
	v_mul_f32_e32 v4, 0x4f7ffffe, v4
	v_cvt_u32_f32_e32 v7, v4
	s_add_i32 s25, s2, -1
	v_lshl_or_b32 v6, s4, 7, v0
	s_waitcnt lgkmcnt(0)
	v_mov_b32_e32 v0, s9
	v_mov_b32_e32 v9, s8
	s_mov_b32 s2, 0x3fb8aa3b
	s_mov_b32 s10, 0xc2ce8ed0
	;; [unrolled: 1-line block ×4, first 2 shown]
	v_mov_b32_e32 v8, 0x7f800000
	s_mul_hi_i32 s1, s25, s11
	s_cmp_lg_u64 s[0:1], 0
	s_mul_i32 s22, s25, s11
	s_cbranch_scc0 .LBB8_19
.LBB8_9:
	s_add_u32 s8, s5, 0
	s_addc_u32 s9, 0, 0
	s_xor_b64 s[8:9], s[8:9], 0
	v_cvt_f32_u32_e32 v4, s8
	v_cvt_f32_u32_e32 v5, s9
	s_sub_u32 s23, 0, s8
	s_subb_u32 s26, 0, s9
	v_fmac_f32_e32 v4, 0x4f800000, v5
	v_rcp_f32_e32 v4, v4
	s_nop 0
	v_mul_f32_e32 v4, 0x5f7ffffc, v4
	v_mul_f32_e32 v5, 0x2f800000, v4
	v_trunc_f32_e32 v5, v5
	v_fmac_f32_e32 v4, 0xcf800000, v5
	v_cvt_u32_f32_e32 v5, v5
	v_cvt_u32_f32_e32 v4, v4
	v_readfirstlane_b32 s27, v5
	v_readfirstlane_b32 s20, v4
	s_mul_i32 s21, s23, s27
	s_mul_hi_u32 s29, s23, s20
	s_mul_i32 s28, s26, s20
	s_add_i32 s21, s29, s21
	s_mul_i32 s30, s23, s20
	s_add_i32 s21, s21, s28
	s_mul_i32 s29, s20, s21
	s_mul_hi_u32 s31, s20, s30
	s_mul_hi_u32 s28, s20, s21
	s_add_u32 s29, s31, s29
	s_addc_u32 s28, 0, s28
	s_mul_hi_u32 s33, s27, s30
	s_mul_i32 s30, s27, s30
	s_add_u32 s29, s29, s30
	s_mul_hi_u32 s31, s27, s21
	s_addc_u32 s28, s28, s33
	s_addc_u32 s29, s31, 0
	s_mul_i32 s21, s27, s21
	s_add_u32 s21, s28, s21
	s_addc_u32 s28, 0, s29
	s_add_u32 s29, s20, s21
	s_cselect_b64 s[20:21], -1, 0
	s_cmp_lg_u64 s[20:21], 0
	s_addc_u32 s27, s27, s28
	s_mul_i32 s20, s23, s27
	s_mul_hi_u32 s21, s23, s29
	s_add_i32 s20, s21, s20
	s_mul_i32 s26, s26, s29
	s_add_i32 s20, s20, s26
	s_mul_i32 s23, s23, s29
	s_mul_hi_u32 s26, s27, s23
	s_mul_i32 s28, s27, s23
	s_mul_i32 s31, s29, s20
	s_mul_hi_u32 s23, s29, s23
	s_mul_hi_u32 s30, s29, s20
	s_add_u32 s23, s23, s31
	s_addc_u32 s30, 0, s30
	s_add_u32 s23, s23, s28
	s_mul_hi_u32 s21, s27, s20
	s_addc_u32 s23, s30, s26
	s_addc_u32 s21, s21, 0
	s_mul_i32 s20, s27, s20
	s_add_u32 s20, s23, s20
	s_addc_u32 s23, 0, s21
	s_add_u32 s28, s29, s20
	s_cselect_b64 s[20:21], -1, 0
	s_cmp_lg_u64 s[20:21], 0
	s_addc_u32 s23, s27, s23
	s_ashr_i32 s20, s1, 31
	s_add_u32 s26, s22, s20
	s_mov_b32 s21, s20
	s_addc_u32 s27, s1, s20
	s_xor_b64 s[26:27], s[26:27], s[20:21]
	s_mul_i32 s29, s26, s23
	s_mul_hi_u32 s30, s26, s28
	s_mul_hi_u32 s1, s26, s23
	s_add_u32 s29, s30, s29
	s_addc_u32 s1, 0, s1
	s_mul_hi_u32 s31, s27, s28
	s_mul_i32 s28, s27, s28
	s_add_u32 s28, s29, s28
	s_mul_hi_u32 s30, s27, s23
	s_addc_u32 s1, s1, s31
	s_addc_u32 s28, s30, 0
	s_mul_i32 s23, s27, s23
	s_add_u32 s1, s1, s23
	s_addc_u32 s23, 0, s28
	s_mul_i32 s28, s8, s23
	s_mul_hi_u32 s29, s8, s1
	s_add_i32 s28, s29, s28
	s_mul_i32 s29, s9, s1
	s_add_i32 s33, s28, s29
	s_sub_i32 s30, s27, s33
	s_mul_i32 s28, s8, s1
	s_sub_u32 s26, s26, s28
	s_cselect_b64 s[28:29], -1, 0
	s_cmp_lg_u64 s[28:29], 0
	s_subb_u32 s34, s30, s9
	s_sub_u32 s35, s26, s8
	s_cselect_b64 s[30:31], -1, 0
	s_cmp_lg_u64 s[30:31], 0
	s_subb_u32 s30, s34, 0
	s_cmp_ge_u32 s30, s9
	s_cselect_b32 s31, -1, 0
	s_cmp_ge_u32 s35, s8
	s_cselect_b32 s34, -1, 0
	s_cmp_eq_u32 s30, s9
	s_cselect_b32 s30, s34, s31
	s_add_u32 s31, s1, 1
	s_addc_u32 s34, s23, 0
	s_add_u32 s35, s1, 2
	s_addc_u32 s36, s23, 0
	s_cmp_lg_u32 s30, 0
	s_cselect_b32 s30, s35, s31
	s_cselect_b32 s31, s36, s34
	s_cmp_lg_u64 s[28:29], 0
	s_subb_u32 s27, s27, s33
	s_cmp_ge_u32 s27, s9
	s_cselect_b32 s28, -1, 0
	s_cmp_ge_u32 s26, s8
	s_cselect_b32 s8, -1, 0
	s_cmp_eq_u32 s27, s9
	s_cselect_b32 s8, s8, s28
	s_cmp_lg_u32 s8, 0
	s_cselect_b32 s9, s31, s23
	s_cselect_b32 s8, s30, s1
	s_xor_b64 s[20:21], s[20:21], 0
	s_xor_b64 s[8:9], s[8:9], s[20:21]
	s_sub_u32 s20, s8, s20
	s_cbranch_execnz .LBB8_11
.LBB8_10:
	s_sub_i32 s1, 0, s5
	v_readfirstlane_b32 s8, v7
	s_mul_i32 s1, s1, s8
	s_mul_hi_u32 s1, s8, s1
	s_add_i32 s8, s8, s1
	s_mul_hi_u32 s1, s22, s8
	s_mul_i32 s9, s1, s5
	s_sub_i32 s9, s22, s9
	s_add_i32 s8, s1, 1
	s_sub_i32 s20, s9, s5
	s_cmp_ge_u32 s9, s5
	s_cselect_b32 s1, s8, s1
	s_cselect_b32 s9, s20, s9
	s_add_i32 s8, s1, 1
	s_cmp_ge_u32 s9, s5
	s_cselect_b32 s20, s8, s1
.LBB8_11:
	s_cmp_lg_u32 s6, s20
	s_cbranch_scc0 .LBB8_15
; %bb.12:
	s_add_i32 s21, s25, s3
	s_add_i32 s1, s21, s5
	s_lshl_b32 s1, s1, 4
	s_add_i32 s8, s1, s4
	s_mov_b32 s9, s0
	s_lshl_b64 s[8:9], s[8:9], 3
	s_add_u32 s22, s18, s8
	s_mul_hi_u32 s1, s20, s12
	s_addc_u32 s23, s19, s9
	s_add_i32 s1, s1, s20
	s_lshr_b32 s1, s1, s13
	s_mul_i32 s8, s1, s14
	s_cmp_eq_u32 s8, s20
	s_cselect_b64 s[8:9], -1, 0
	s_cmp_lt_u32 s1, s7
	s_cselect_b64 s[26:27], -1, 0
	s_or_b64 s[26:27], s[26:27], s[8:9]
	s_mov_b64 s[8:9], -1
	s_and_b64 vcc, exec, s[26:27]
	s_mov_b32 s1, s25
	s_mov_b32 s26, s6
	s_cbranch_vccnz .LBB8_14
; %bb.13:
	s_add_i32 s1, s25, -1
	s_mov_b64 s[8:9], 0
	s_mov_b32 s26, s20
.LBB8_14:
	v_lshl_add_u32 v4, s21, 11, v6
	v_ashrrev_i32_e32 v5, 31, v4
	v_lshl_add_u64 v[4:5], v[4:5], 2, s[16:17]
	global_load_dword v5, v[4:5], off
	s_load_dwordx2 s[20:21], s[22:23], 0x0
	v_max_f32_e32 v4, v9, v9
	s_waitcnt lgkmcnt(0)
	v_max_f32_e64 v10, s20, s20
	v_max_f32_e32 v10, v4, v10
	v_sub_f32_e32 v11, v9, v10
	v_sub_f32_e32 v13, s20, v10
	v_mul_f32_e32 v4, 0x3fb8aa3b, v11
	v_mul_f32_e32 v12, 0x3fb8aa3b, v13
	v_fma_f32 v14, v11, s2, -v4
	v_rndne_f32_e32 v15, v4
	v_fma_f32 v16, v13, s2, -v12
	v_rndne_f32_e32 v17, v12
	v_fmac_f32_e32 v14, 0x32a5705f, v11
	v_sub_f32_e32 v4, v4, v15
	v_fmac_f32_e32 v16, 0x32a5705f, v13
	v_sub_f32_e32 v12, v12, v17
	v_add_f32_e32 v4, v4, v14
	v_cvt_i32_f32_e32 v15, v15
	v_add_f32_e32 v12, v12, v16
	v_exp_f32_e32 v14, v4
	v_cvt_i32_f32_e32 v17, v17
	v_exp_f32_e32 v12, v12
	v_cmp_ngt_f32_e32 vcc, s10, v11
	v_ldexp_f32 v14, v14, v15
	v_mov_b32_e32 v4, s21
	v_ldexp_f32 v12, v12, v17
	v_cndmask_b32_e32 v14, 0, v14, vcc
	v_cmp_ngt_f32_e32 vcc, s10, v13
	s_nop 1
	v_cndmask_b32_e32 v12, 0, v12, vcc
	v_cmp_nlt_f32_e32 vcc, s15, v11
	s_nop 1
	v_cndmask_b32_e32 v14, v8, v14, vcc
	v_cmp_nlt_f32_e32 vcc, s15, v13
	s_nop 1
	v_cndmask_b32_e32 v15, v8, v12, vcc
	v_cmp_le_f32_e32 vcc, s24, v11
	s_nop 1
	v_cndmask_b32_e32 v12, 0, v14, vcc
	v_cmp_le_f32_e32 vcc, s24, v13
	s_nop 1
	v_cndmask_b32_e32 v14, 0, v15, vcc
	s_waitcnt vmcnt(0)
	v_pk_mul_f32 v[4:5], v[4:5], v[14:15] op_sel_hi:[1,0]
	s_nop 0
	v_pk_fma_f32 v[4:5], v[0:1], v[12:13], v[4:5] op_sel_hi:[1,0,1]
	s_cbranch_execz .LBB8_16
	s_branch .LBB8_17
.LBB8_15:
                                        ; implicit-def: $vgpr4_vgpr5
                                        ; implicit-def: $sgpr8_sgpr9
                                        ; implicit-def: $vgpr10
                                        ; implicit-def: $sgpr1
                                        ; implicit-def: $sgpr26
.LBB8_16:
	s_add_i32 s1, s25, -1
	s_mov_b64 s[8:9], 0
	s_mov_b32 s26, s6
	v_mov_b32_e32 v10, v9
	s_waitcnt vmcnt(0)
	v_mov_b64_e32 v[4:5], v[0:1]
.LBB8_17:
	s_andn2_b64 vcc, exec, s[8:9]
	s_cbranch_vccz .LBB8_22
; %bb.18:
	s_mov_b32 s6, s26
	s_mov_b32 s25, s1
	v_mov_b32_e32 v9, v10
	s_waitcnt vmcnt(0)
	v_mov_b64_e32 v[0:1], v[4:5]
	s_mul_hi_i32 s1, s25, s11
	s_cmp_lg_u64 s[0:1], 0
	s_mul_i32 s22, s25, s11
	s_cbranch_scc1 .LBB8_9
.LBB8_19:
                                        ; implicit-def: $sgpr20_sgpr21
	s_branch .LBB8_10
.LBB8_20:
                                        ; implicit-def: $sgpr6_sgpr7
	s_load_dwordx4 s[12:15], s[0:1], 0x44
	s_branch .LBB8_2
.LBB8_21:
                                        ; implicit-def: $sgpr18_sgpr19
	s_branch .LBB8_5
.LBB8_22:
	v_div_scale_f32 v0, s[0:1], v4, v4, v5
	s_waitcnt vmcnt(0)
	v_rcp_f32_e32 v1, v0
	v_div_scale_f32 v6, vcc, v5, v4, v5
	v_fma_f32 v7, -v0, v1, 1.0
	v_fmac_f32_e32 v1, v7, v1
	v_mul_f32_e32 v7, v6, v1
	v_fma_f32 v8, -v0, v7, v6
	v_fmac_f32_e32 v7, v8, v1
	v_fma_f32 v0, -v0, v7, v6
	v_div_fmas_f32 v0, v0, v1, v7
	v_div_fixup_f32 v0, v0, v4, v5
	global_store_dword v[2:3], v0, off
.LBB8_23:
	s_endpgm
	.section	.rodata,"a",@progbits
	.p2align	6, 0x0
	.amdhsa_kernel _ZL33flash_attn_stream_k_fixup_generalILi128ELi1ELi16EEvPfPK15HIP_vector_typeIfLj2EEiiiiS1_IjLj3EES5_S5_S5_
		.amdhsa_group_segment_fixed_size 0
		.amdhsa_private_segment_fixed_size 0
		.amdhsa_kernarg_size 336
		.amdhsa_user_sgpr_count 2
		.amdhsa_user_sgpr_dispatch_ptr 0
		.amdhsa_user_sgpr_queue_ptr 0
		.amdhsa_user_sgpr_kernarg_segment_ptr 1
		.amdhsa_user_sgpr_dispatch_id 0
		.amdhsa_user_sgpr_kernarg_preload_length 0
		.amdhsa_user_sgpr_kernarg_preload_offset 0
		.amdhsa_user_sgpr_private_segment_size 0
		.amdhsa_uses_dynamic_stack 0
		.amdhsa_enable_private_segment 0
		.amdhsa_system_sgpr_workgroup_id_x 1
		.amdhsa_system_sgpr_workgroup_id_y 1
		.amdhsa_system_sgpr_workgroup_id_z 1
		.amdhsa_system_sgpr_workgroup_info 0
		.amdhsa_system_vgpr_workitem_id 0
		.amdhsa_next_free_vgpr 18
		.amdhsa_next_free_sgpr 37
		.amdhsa_accum_offset 20
		.amdhsa_reserve_vcc 1
		.amdhsa_float_round_mode_32 0
		.amdhsa_float_round_mode_16_64 0
		.amdhsa_float_denorm_mode_32 3
		.amdhsa_float_denorm_mode_16_64 3
		.amdhsa_dx10_clamp 1
		.amdhsa_ieee_mode 1
		.amdhsa_fp16_overflow 0
		.amdhsa_tg_split 0
		.amdhsa_exception_fp_ieee_invalid_op 0
		.amdhsa_exception_fp_denorm_src 0
		.amdhsa_exception_fp_ieee_div_zero 0
		.amdhsa_exception_fp_ieee_overflow 0
		.amdhsa_exception_fp_ieee_underflow 0
		.amdhsa_exception_fp_ieee_inexact 0
		.amdhsa_exception_int_div_zero 0
	.end_amdhsa_kernel
	.section	.text._ZL33flash_attn_stream_k_fixup_generalILi128ELi1ELi16EEvPfPK15HIP_vector_typeIfLj2EEiiiiS1_IjLj3EES5_S5_S5_,"axG",@progbits,_ZL33flash_attn_stream_k_fixup_generalILi128ELi1ELi16EEvPfPK15HIP_vector_typeIfLj2EEiiiiS1_IjLj3EES5_S5_S5_,comdat
.Lfunc_end8:
	.size	_ZL33flash_attn_stream_k_fixup_generalILi128ELi1ELi16EEvPfPK15HIP_vector_typeIfLj2EEiiiiS1_IjLj3EES5_S5_S5_, .Lfunc_end8-_ZL33flash_attn_stream_k_fixup_generalILi128ELi1ELi16EEvPfPK15HIP_vector_typeIfLj2EEiiiiS1_IjLj3EES5_S5_S5_
                                        ; -- End function
	.set _ZL33flash_attn_stream_k_fixup_generalILi128ELi1ELi16EEvPfPK15HIP_vector_typeIfLj2EEiiiiS1_IjLj3EES5_S5_S5_.num_vgpr, 18
	.set _ZL33flash_attn_stream_k_fixup_generalILi128ELi1ELi16EEvPfPK15HIP_vector_typeIfLj2EEiiiiS1_IjLj3EES5_S5_S5_.num_agpr, 0
	.set _ZL33flash_attn_stream_k_fixup_generalILi128ELi1ELi16EEvPfPK15HIP_vector_typeIfLj2EEiiiiS1_IjLj3EES5_S5_S5_.numbered_sgpr, 37
	.set _ZL33flash_attn_stream_k_fixup_generalILi128ELi1ELi16EEvPfPK15HIP_vector_typeIfLj2EEiiiiS1_IjLj3EES5_S5_S5_.num_named_barrier, 0
	.set _ZL33flash_attn_stream_k_fixup_generalILi128ELi1ELi16EEvPfPK15HIP_vector_typeIfLj2EEiiiiS1_IjLj3EES5_S5_S5_.private_seg_size, 0
	.set _ZL33flash_attn_stream_k_fixup_generalILi128ELi1ELi16EEvPfPK15HIP_vector_typeIfLj2EEiiiiS1_IjLj3EES5_S5_S5_.uses_vcc, 1
	.set _ZL33flash_attn_stream_k_fixup_generalILi128ELi1ELi16EEvPfPK15HIP_vector_typeIfLj2EEiiiiS1_IjLj3EES5_S5_S5_.uses_flat_scratch, 0
	.set _ZL33flash_attn_stream_k_fixup_generalILi128ELi1ELi16EEvPfPK15HIP_vector_typeIfLj2EEiiiiS1_IjLj3EES5_S5_S5_.has_dyn_sized_stack, 0
	.set _ZL33flash_attn_stream_k_fixup_generalILi128ELi1ELi16EEvPfPK15HIP_vector_typeIfLj2EEiiiiS1_IjLj3EES5_S5_S5_.has_recursion, 0
	.set _ZL33flash_attn_stream_k_fixup_generalILi128ELi1ELi16EEvPfPK15HIP_vector_typeIfLj2EEiiiiS1_IjLj3EES5_S5_S5_.has_indirect_call, 0
	.section	.AMDGPU.csdata,"",@progbits
; Kernel info:
; codeLenInByte = 2924
; TotalNumSgprs: 43
; NumVgprs: 18
; NumAgprs: 0
; TotalNumVgprs: 18
; ScratchSize: 0
; MemoryBound: 0
; FloatMode: 240
; IeeeMode: 1
; LDSByteSize: 0 bytes/workgroup (compile time only)
; SGPRBlocks: 5
; VGPRBlocks: 2
; NumSGPRsForWavesPerEU: 43
; NumVGPRsForWavesPerEU: 18
; AccumOffset: 20
; Occupancy: 8
; WaveLimiterHint : 0
; COMPUTE_PGM_RSRC2:SCRATCH_EN: 0
; COMPUTE_PGM_RSRC2:USER_SGPR: 2
; COMPUTE_PGM_RSRC2:TRAP_HANDLER: 0
; COMPUTE_PGM_RSRC2:TGID_X_EN: 1
; COMPUTE_PGM_RSRC2:TGID_Y_EN: 1
; COMPUTE_PGM_RSRC2:TGID_Z_EN: 1
; COMPUTE_PGM_RSRC2:TIDIG_COMP_CNT: 0
; COMPUTE_PGM_RSRC3_GFX90A:ACCUM_OFFSET: 4
; COMPUTE_PGM_RSRC3_GFX90A:TG_SPLIT: 0
	.section	.text._ZL15flash_attn_tileILi192ELi128ELi4ELi8ELb0EEvPKcS1_S1_S1_S1_PKiPfP15HIP_vector_typeIfLj2EEffffjfiS5_IjLj3EEiiiiiiiiiiiliiliiiiil,"axG",@progbits,_ZL15flash_attn_tileILi192ELi128ELi4ELi8ELb0EEvPKcS1_S1_S1_S1_PKiPfP15HIP_vector_typeIfLj2EEffffjfiS5_IjLj3EEiiiiiiiiiiiliiliiiiil,comdat
	.globl	_ZL15flash_attn_tileILi192ELi128ELi4ELi8ELb0EEvPKcS1_S1_S1_S1_PKiPfP15HIP_vector_typeIfLj2EEffffjfiS5_IjLj3EEiiiiiiiiiiiliiliiiiil ; -- Begin function _ZL15flash_attn_tileILi192ELi128ELi4ELi8ELb0EEvPKcS1_S1_S1_S1_PKiPfP15HIP_vector_typeIfLj2EEffffjfiS5_IjLj3EEiiiiiiiiiiiliiliiiiil
	.p2align	8
	.type	_ZL15flash_attn_tileILi192ELi128ELi4ELi8ELb0EEvPKcS1_S1_S1_S1_PKiPfP15HIP_vector_typeIfLj2EEffffjfiS5_IjLj3EEiiiiiiiiiiiliiliiiiil,@function
_ZL15flash_attn_tileILi192ELi128ELi4ELi8ELb0EEvPKcS1_S1_S1_S1_PKiPfP15HIP_vector_typeIfLj2EEffffjfiS5_IjLj3EEiiiiiiiiiiiliiliiiiil: ; @_ZL15flash_attn_tileILi192ELi128ELi4ELi8ELb0EEvPKcS1_S1_S1_S1_PKiPfP15HIP_vector_typeIfLj2EEffffjfiS5_IjLj3EEiiiiiiiiiiiliiliiiiil
; %bb.0:
	s_load_dwordx4 s[28:31], s[0:1], 0x5c
	s_load_dwordx2 s[34:35], s[0:1], 0x80
	s_load_dwordx16 s[12:27], s[0:1], 0x0
	s_mov_b64 s[36:37], 0
	s_waitcnt lgkmcnt(0)
	s_ashr_i32 s5, s31, 31
	s_lshr_b32 s5, s5, 29
	s_add_i32 s5, s31, s5
	s_ashr_i32 s5, s5, 3
	v_cvt_f32_u32_e32 v1, s5
	s_sub_i32 s6, 0, s5
	v_rcp_iflag_f32_e32 v1, v1
	s_nop 0
	v_mul_f32_e32 v1, 0x4f7ffffe, v1
	v_cvt_u32_f32_e32 v1, v1
	s_nop 0
	v_readfirstlane_b32 s7, v1
	s_mul_i32 s6, s6, s7
	s_mul_hi_u32 s6, s7, s6
	s_add_i32 s7, s7, s6
	s_mul_hi_u32 s6, s4, s7
	s_mul_i32 s7, s6, s5
	s_sub_i32 s7, s4, s7
	s_add_i32 s8, s6, 1
	s_sub_i32 s9, s7, s5
	s_cmp_ge_u32 s7, s5
	s_cselect_b32 s6, s8, s6
	s_cselect_b32 s7, s9, s7
	s_add_i32 s8, s6, 1
	s_cmp_ge_u32 s7, s5
	s_cselect_b32 s33, s8, s6
	s_abs_i32 s5, s35
	v_cvt_f32_u32_e32 v1, s5
	s_lshl_b32 s4, s4, 3
	s_mul_i32 s8, s33, s31
	s_xor_b32 s6, s31, s35
	v_rcp_iflag_f32_e32 v1, v1
	s_sub_i32 s9, 0, s5
	s_sub_i32 s35, s4, s8
	s_abs_i32 s7, s31
	v_mul_f32_e32 v1, 0x4f7ffffe, v1
	v_cvt_u32_f32_e32 v1, v1
	s_ashr_i32 s6, s6, 31
	v_readfirstlane_b32 s4, v1
	s_mul_i32 s9, s9, s4
	s_mul_hi_u32 s8, s4, s9
	s_add_i32 s4, s4, s8
	s_mul_hi_u32 s4, s7, s4
	s_mul_i32 s8, s4, s5
	s_sub_i32 s7, s7, s8
	s_add_i32 s9, s4, 1
	s_sub_i32 s8, s7, s5
	s_cmp_ge_u32 s7, s5
	s_cselect_b32 s4, s9, s4
	s_cselect_b32 s7, s8, s7
	s_add_i32 s8, s4, 1
	s_cmp_ge_u32 s7, s5
	s_cselect_b32 s4, s8, s4
	s_xor_b32 s4, s4, s6
	s_sub_i32 s39, s4, s6
	s_abs_i32 s38, s39
	v_cvt_f32_u32_e32 v1, s38
	s_load_dwordx2 s[4:5], s[0:1], 0xb8
	s_cmp_eq_u64 s[18:19], 0
	v_rcp_iflag_f32_e32 v1, v1
	s_nop 0
	v_mul_f32_e32 v1, 0x4f7ffffe, v1
	v_cvt_u32_f32_e32 v1, v1
	s_nop 0
	v_readfirstlane_b32 s40, v1
	s_cbranch_scc1 .LBB9_2
; %bb.1:
	s_waitcnt lgkmcnt(0)
	s_abs_i32 s4, s4
	v_cvt_f32_u32_e32 v1, s4
	s_sub_i32 s10, 0, s4
	s_abs_i32 s9, s33
	s_ashr_i32 s8, s33, 31
	v_rcp_iflag_f32_e32 v1, v1
	s_load_dwordx2 s[6:7], s[0:1], 0xc8
	v_mul_f32_e32 v1, 0x4f7ffffe, v1
	v_cvt_u32_f32_e32 v1, v1
	s_nop 0
	v_readfirstlane_b32 s11, v1
	s_mul_i32 s10, s10, s11
	s_mul_hi_u32 s10, s11, s10
	s_add_i32 s11, s11, s10
	s_mul_hi_u32 s10, s9, s11
	s_mul_i32 s10, s10, s4
	s_sub_i32 s9, s9, s10
	s_sub_i32 s10, s9, s4
	s_cmp_ge_u32 s9, s4
	s_cselect_b32 s9, s10, s9
	s_sub_i32 s10, s9, s4
	s_cmp_ge_u32 s9, s4
	s_cselect_b32 s4, s10, s9
	s_xor_b32 s4, s4, s8
	s_sub_i32 s4, s4, s8
	s_ashr_i32 s8, s4, 31
	s_waitcnt lgkmcnt(0)
	s_mul_hi_u32 s9, s6, s4
	s_mul_i32 s8, s6, s8
	s_mul_i32 s7, s7, s4
	s_add_i32 s8, s9, s8
	s_add_i32 s8, s8, s7
	s_mul_i32 s4, s6, s4
	s_add_u32 s36, s18, s4
	s_addc_u32 s37, s19, s8
.LBB9_2:
	s_load_dwordx4 s[44:47], s[0:1], 0x70
	v_lshrrev_b32_e32 v1, 10, v0
	v_bfe_u32 v1, v1, 1, 9
	v_lshl_add_u32 v17, s2, 2, v1
	v_bfe_u32 v4, v0, 10, 10
	s_waitcnt lgkmcnt(0)
	s_mul_i32 s4, s33, s46
	s_ashr_i32 s7, s4, 31
	s_mul_i32 s6, s35, s45
	s_add_u32 s4, s12, s4
	v_and_b32_e32 v16, 0x3ff, v0
	v_mul_hi_u32 v0, s28, v17
	s_addc_u32 s7, s13, s7
	s_ashr_i32 s8, s6, 31
	v_add_u32_e32 v0, v17, v0
	s_add_u32 s6, s4, s6
	v_lshrrev_b32_e32 v0, s29, v0
	s_addc_u32 s7, s7, s8
	s_ashr_i32 s11, s45, 31
	s_mov_b32 s10, s45
	v_mul_lo_u32 v0, v0, s30
	s_ashr_i32 s45, s44, 31
	v_sub_u32_e32 v7, v17, v0
	s_lshr_b64 s[12:13], s[44:45], 2
	v_mad_u64_u32 v[0:1], s[12:13], s12, v7, 0
	v_mov_b32_e32 v2, v1
	s_lshr_b32 s4, s45, 2
	v_mad_u64_u32 v[2:3], s[12:13], s4, v7, v[2:3]
	v_lshlrev_b32_e32 v6, 2, v4
	v_mov_b32_e32 v1, v2
	s_lshr_b64 s[8:9], s[10:11], 2
	v_lshl_add_u64 v[0:1], v[0:1], 2, s[6:7]
	v_lshlrev_b32_e32 v2, 4, v16
	v_mov_b32_e32 v3, 0
	v_and_b32_e32 v32, 4, v6
	v_lshl_add_u64 v[0:1], v[0:1], 0, v[2:3]
	v_mul_i32_i24_e32 v5, s11, v32
	v_mad_u64_u32 v[2:3], s[6:7], s8, v32, 0
	v_or_b32_e32 v3, v3, v5
	v_lshl_add_u64 v[2:3], v[2:3], 2, v[0:1]
	global_load_dwordx4 v[8:11], v[2:3], off
	s_load_dword s6, s[0:1], 0x40
	s_movk_i32 s4, 0x600
	v_lshlrev_b32_e32 v5, 3, v16
	v_mul_u32_u24_e32 v34, 0x600, v4
	v_mad_u32_u24 v12, v4, s4, v5
	s_waitcnt lgkmcnt(0)
	s_mov_b32 s7, s6
	v_cmp_gt_u32_e32 vcc, 16, v16
	s_waitcnt vmcnt(0)
	v_fma_mixlo_f16 v13, s6, v8, 0
	v_mov_b32_e32 v8, v11
	v_pk_mul_f32 v[8:9], s[6:7], v[8:9] op_sel_hi:[0,1]
	v_cvt_pk_f16_f32 v8, v8, v9
	v_fma_mixlo_f16 v10, s6, v10, 0
	v_and_b32_e32 v11, 0xffff, v13
	v_lshlrev_b32_e32 v9, 16, v8
	v_and_b32_e32 v8, 0xffff0000, v8
	v_and_b32_e32 v10, 0xffff, v10
	v_or_b32_e32 v8, v8, v11
	v_or3_b32 v9, v9, v10, 0
	v_or3_b32 v8, 0, 0, v8
	ds_write_b64 v12, v[8:9]
	s_and_saveexec_b64 s[10:11], vcc
	s_cbranch_execz .LBB9_4
; %bb.3:
	global_load_dwordx4 v[8:11], v[2:3], off offset:512
	s_waitcnt vmcnt(0)
	v_fma_mixlo_f16 v2, s6, v8, 0
	v_fma_mixlo_f16 v3, s6, v10, 0
	v_mov_b32_e32 v8, v11
	v_and_b32_e32 v10, 0xffff, v2
	v_and_b32_e32 v11, 0xffff, v3
	v_pk_mul_f32 v[2:3], s[6:7], v[8:9]
	v_add_u32_e32 v8, v5, v34
	v_cvt_pk_f16_f32 v2, v2, v3
	v_lshlrev_b32_e32 v3, 16, v2
	v_and_b32_e32 v2, 0xffff0000, v2
	v_or_b32_e32 v2, v2, v10
	v_or3_b32 v3, v3, v11, 0
	v_or3_b32 v2, 0, 0, v2
	ds_write_b64 v8, v[2:3] offset:256
.LBB9_4:
	s_or_b64 exec, exec, s[10:11]
	v_bitop3_b32 v9, v6, 5, 1 bitop3:0xc8
	v_mad_u64_u32 v[2:3], s[10:11], s8, v9, 0
	v_mov_b32_e32 v8, v3
	v_mad_u64_u32 v[8:9], s[10:11], s9, v9, v[8:9]
	v_mov_b32_e32 v3, v8
	v_lshl_add_u64 v[2:3], v[2:3], 2, v[0:1]
	global_load_dwordx4 v[8:11], v[2:3], off
	v_or_b32_e32 v12, 1, v6
	s_movk_i32 s4, 0x180
	v_mul_u32_u24_e32 v13, 0x180, v12
	v_mad_u32_u24 v12, v12, s4, v5
	s_waitcnt vmcnt(0)
	v_fma_mixlo_f16 v14, s6, v8, 0
	v_mov_b32_e32 v8, v11
	v_pk_mul_f32 v[8:9], s[6:7], v[8:9]
	v_fma_mixlo_f16 v10, s6, v10, 0
	v_cvt_pk_f16_f32 v8, v8, v9
	v_and_b32_e32 v11, 0xffff, v14
	v_lshlrev_b32_e32 v9, 16, v8
	v_and_b32_e32 v8, 0xffff0000, v8
	v_and_b32_e32 v10, 0xffff, v10
	v_or_b32_e32 v8, v8, v11
	v_or3_b32 v9, v9, v10, 0
	v_or3_b32 v8, 0, 0, v8
	ds_write_b64 v12, v[8:9]
	v_add_u32_e32 v8, v5, v13
	s_and_saveexec_b64 s[10:11], vcc
	s_cbranch_execz .LBB9_6
; %bb.5:
	global_load_dwordx4 v[10:13], v[2:3], off offset:512
	s_waitcnt vmcnt(0)
	v_fma_mixlo_f16 v2, s6, v10, 0
	v_fma_mixlo_f16 v3, s6, v12, 0
	v_mov_b32_e32 v10, v13
	v_and_b32_e32 v9, 0xffff, v2
	v_and_b32_e32 v12, 0xffff, v3
	v_pk_mul_f32 v[2:3], s[6:7], v[10:11]
	s_nop 0
	v_cvt_pk_f16_f32 v2, v2, v3
	v_lshlrev_b32_e32 v3, 16, v2
	v_and_b32_e32 v2, 0xffff0000, v2
	v_or_b32_e32 v2, v2, v9
	v_or3_b32 v3, v3, v12, 0
	v_or3_b32 v2, 0, 0, v2
	ds_write_b64 v8, v[2:3] offset:256
.LBB9_6:
	s_or_b64 exec, exec, s[10:11]
	v_bitop3_b32 v9, v6, 6, 2 bitop3:0xc8
	v_mad_u64_u32 v[2:3], s[10:11], s8, v9, 0
	v_mov_b32_e32 v10, v3
	v_mad_u64_u32 v[10:11], s[10:11], s9, v9, v[10:11]
	v_mov_b32_e32 v3, v10
	v_lshl_add_u64 v[2:3], v[2:3], 2, v[0:1]
	global_load_dwordx4 v[10:13], v[2:3], off
	s_waitcnt vmcnt(0)
	v_fma_mixlo_f16 v9, s6, v10, 0
	v_mov_b32_e32 v10, v13
	v_pk_mul_f32 v[10:11], s[6:7], v[10:11]
	v_fma_mixlo_f16 v12, s6, v12, 0
	v_cvt_pk_f16_f32 v10, v10, v11
	v_and_b32_e32 v9, 0xffff, v9
	v_lshlrev_b32_e32 v11, 16, v10
	v_and_b32_e32 v10, 0xffff0000, v10
	v_and_b32_e32 v12, 0xffff, v12
	v_or_b32_e32 v9, v10, v9
	v_or3_b32 v11, v11, v12, 0
	v_or3_b32 v10, 0, 0, v9
	ds_write_b64 v8, v[10:11] offset:384
	s_and_saveexec_b64 s[10:11], vcc
	s_cbranch_execz .LBB9_8
; %bb.7:
	global_load_dwordx4 v[10:13], v[2:3], off offset:512
	s_waitcnt vmcnt(0)
	v_fma_mixlo_f16 v2, s6, v10, 0
	v_fma_mixlo_f16 v3, s6, v12, 0
	v_mov_b32_e32 v10, v13
	v_and_b32_e32 v9, 0xffff, v2
	v_and_b32_e32 v12, 0xffff, v3
	v_pk_mul_f32 v[2:3], s[6:7], v[10:11]
	s_nop 0
	v_cvt_pk_f16_f32 v2, v2, v3
	v_lshlrev_b32_e32 v3, 16, v2
	v_and_b32_e32 v2, 0xffff0000, v2
	v_or_b32_e32 v2, v2, v9
	v_or3_b32 v3, v3, v12, 0
	v_or3_b32 v2, 0, 0, v2
	ds_write_b64 v8, v[2:3] offset:640
.LBB9_8:
	s_or_b64 exec, exec, s[10:11]
	v_bitop3_b32 v9, v6, 7, 3 bitop3:0xc8
	v_mad_u64_u32 v[2:3], s[10:11], s8, v9, 0
	v_mov_b32_e32 v10, v3
	v_mad_u64_u32 v[10:11], s[8:9], s9, v9, v[10:11]
	v_mov_b32_e32 v3, v10
	v_lshl_add_u64 v[0:1], v[2:3], 2, v[0:1]
	global_load_dwordx4 v[10:13], v[0:1], off
	s_waitcnt vmcnt(0)
	v_fma_mixlo_f16 v2, s6, v10, 0
	v_fma_mixlo_f16 v3, s6, v12, 0
	v_mov_b32_e32 v10, v13
	v_and_b32_e32 v9, 0xffff, v2
	v_and_b32_e32 v12, 0xffff, v3
	v_pk_mul_f32 v[2:3], s[6:7], v[10:11]
	s_nop 0
	v_cvt_pk_f16_f32 v2, v2, v3
	v_lshlrev_b32_e32 v3, 16, v2
	v_and_b32_e32 v2, 0xffff0000, v2
	v_or_b32_e32 v2, v2, v9
	v_or3_b32 v3, v3, v12, 0
	v_or3_b32 v2, 0, 0, v2
	ds_write_b64 v8, v[2:3] offset:768
	s_and_saveexec_b64 s[8:9], vcc
	s_cbranch_execz .LBB9_10
; %bb.9:
	global_load_dwordx4 v[0:3], v[0:1], off offset:512
	s_waitcnt vmcnt(0)
	v_fma_mixlo_f16 v9, s6, v0, 0
	v_mov_b32_e32 v0, v3
	v_pk_mul_f32 v[0:1], s[6:7], v[0:1]
	v_fma_mixlo_f16 v2, s6, v2, 0
	v_cvt_pk_f16_f32 v0, v0, v1
	v_and_b32_e32 v3, 0xffff, v9
	v_lshlrev_b32_e32 v1, 16, v0
	v_and_b32_e32 v0, 0xffff0000, v0
	v_and_b32_e32 v2, 0xffff, v2
	v_or_b32_e32 v0, v0, v3
	v_or3_b32 v1, v1, v2, 0
	v_or3_b32 v0, 0, 0, v0
	ds_write_b64 v8, v[0:1] offset:1024
.LBB9_10:
	s_or_b64 exec, exec, s[8:9]
	s_cmp_eq_u64 s[22:23], 0
	s_waitcnt lgkmcnt(0)
	s_barrier
	s_cbranch_scc1 .LBB9_12
; %bb.11:
	s_load_dword s4, s[0:1], 0xd0
	s_mov_b32 s7, 0
	s_waitcnt lgkmcnt(0)
	s_mul_i32 s4, s4, s33
	s_add_i32 s6, s4, s2
	s_lshl_b64 s[6:7], s[6:7], 2
	s_add_u32 s6, s22, s6
	s_addc_u32 s7, s23, s7
	s_load_dword s34, s[6:7], 0x0
.LBB9_12:
	s_lshl_b32 s2, s3, 5
	s_waitcnt lgkmcnt(0)
	s_cmp_lt_i32 s2, s34
	v_mbcnt_lo_u32_b32 v1, -1, 0
	s_cbranch_scc1 .LBB9_15
; %bb.13:
	v_mbcnt_hi_u32_b32 v25, -1, v1
	v_and_b32_e32 v0, 0x60, v25
	v_add_u32_e32 v28, 32, v0
	v_xor_b32_e32 v37, 16, v25
	v_xor_b32_e32 v38, 8, v25
	;; [unrolled: 1-line block ×5, first 2 shown]
	v_lshlrev_b32_e32 v33, 2, v16
	s_cbranch_execz .LBB9_16
; %bb.14:
	v_mov_b32_e32 v19, 0
	v_mov_b32_e32 v53, 0
	;; [unrolled: 1-line block ×16, first 2 shown]
	s_branch .LBB9_18
.LBB9_15:
                                        ; implicit-def: $vgpr25
                                        ; implicit-def: $vgpr28
                                        ; implicit-def: $vgpr37
                                        ; implicit-def: $vgpr38
                                        ; implicit-def: $vgpr39
                                        ; implicit-def: $vgpr36
                                        ; implicit-def: $vgpr35
	v_lshlrev_b32_e32 v33, 2, v16
.LBB9_16:
	s_load_dwordx2 s[6:7], s[0:1], 0x8c
	s_load_dwordx4 s[8:11], s[0:1], 0x98
	s_sub_i32 s4, 0, s38
	s_mul_i32 s4, s4, s40
	s_mul_hi_u32 s4, s40, s4
	s_waitcnt lgkmcnt(0)
	s_ashr_i32 s23, s6, 2
	s_ashr_i32 s6, s33, 31
	;; [unrolled: 1-line block ×4, first 2 shown]
	s_mul_hi_u32 s5, s8, s33
	s_mul_i32 s29, s8, s6
	s_abs_i32 s18, s35
	s_add_i32 s40, s40, s4
	s_add_i32 s5, s5, s29
	s_mul_i32 s9, s9, s33
	s_mul_hi_u32 s4, s18, s40
	s_ashr_i32 s19, s35, 31
	s_ashr_i32 s28, s39, 31
	s_add_i32 s5, s5, s9
	s_mul_i32 s8, s8, s33
	s_add_u32 s8, s14, s8
	s_mul_i32 s14, s4, s38
	s_addc_u32 s5, s15, s5
	s_sub_i32 s14, s18, s14
	s_xor_b32 s9, s19, s28
	s_add_i32 s15, s4, 1
	s_sub_i32 s18, s14, s38
	s_cmp_ge_u32 s14, s38
	s_cselect_b32 s4, s15, s4
	s_cselect_b32 s14, s18, s14
	s_add_i32 s15, s4, 1
	s_cmp_ge_u32 s14, s38
	s_cselect_b32 s4, s15, s4
	s_load_dwordx2 s[12:13], s[0:1], 0xa8
	s_xor_b32 s4, s4, s9
	s_sub_i32 s9, s4, s9
	s_mul_i32 s4, s9, s7
	s_ashr_i32 s7, s4, 31
	s_add_u32 s4, s8, s4
	s_addc_u32 s5, s5, s7
	s_waitcnt lgkmcnt(0)
	s_mul_hi_u32 s7, s12, s33
	s_mul_i32 s6, s12, s6
	s_add_i32 s6, s7, s6
	s_mul_i32 s7, s13, s33
	s_add_i32 s6, s6, s7
	s_mul_i32 s7, s12, s33
	s_add_u32 s7, s16, s7
	s_mul_i32 s9, s9, s11
	v_lshrrev_b32_e32 v0, 3, v16
	s_addc_u32 s8, s17, s6
	s_ashr_i32 s11, s9, 31
	v_add_u32_e32 v0, v0, v6
	v_and_b32_e32 v2, 28, v33
	s_add_u32 s6, s7, s9
	v_mul_u32_u24_e32 v3, 0x90, v0
	v_lshlrev_b32_e32 v28, 2, v2
	s_movk_i32 s9, 0x3000
	v_mul_lo_u32 v2, s23, v0
	s_addc_u32 s7, s8, s11
	s_movk_i32 s8, 0x90
	v_add3_u32 v40, v3, v28, s9
	v_ashrrev_i32_e32 v3, 31, v2
	v_mov_b32_e32 v0, 0x3000
	v_lshl_add_u64 v[2:3], v[2:3], 2, s[4:5]
	v_mov_b32_e32 v29, 0
	v_mad_u32_u24 v41, v16, s8, v0
	v_mov_b32_e32 v0, 0x4200
	v_lshl_add_u64 v[22:23], v[2:3], 0, v[28:29]
	v_lshl_add_u32 v42, v4, 8, v0
	v_lshrrev_b32_e32 v0, 4, v16
	v_and_b32_e32 v2, 60, v33
	v_lshl_add_u32 v0, v4, 1, v0
	v_lshlrev_b32_e32 v28, 2, v2
	v_lshl_or_b32 v2, v0, 8, v28
	v_mad_u64_u32 v[24:25], s[4:5], v7, s10, v[16:17]
	v_add_u32_e32 v43, 0x3000, v2
	v_mul_lo_u32 v2, s22, v0
	v_ashrrev_i32_e32 v3, 31, v2
	v_mbcnt_hi_u32_b32 v25, -1, v1
	v_lshl_add_u64 v[2:3], v[2:3], 2, s[6:7]
	s_add_u32 s18, s0, 0xd0
	v_and_b32_e32 v1, 0x60, v25
	v_lshl_add_u64 v[26:27], v[2:3], 0, v[28:29]
	s_addc_u32 s19, s1, 0
	v_mov_b32_e32 v0, 0xfeffffff
	v_add_u32_e32 v28, 32, v1
	v_xor_b32_e32 v37, 16, v25
	v_xor_b32_e32 v38, 8, v25
	;; [unrolled: 1-line block ×5, first 2 shown]
	s_mov_b32 s28, 0x3fb8aa3b
	s_mov_b32 s29, 0xc2ce8ed0
	;; [unrolled: 1-line block ×3, first 2 shown]
	v_mov_b32_e32 v44, 0x7f800000
	s_mov_b32 s39, 0x10001
	v_add_u32_e32 v45, v42, v5
	v_add_u32_e32 v46, 0x3000, v5
	;; [unrolled: 1-line block ×3, first 2 shown]
	v_mov_b32_e32 v48, v29
	v_mov_b32_e32 v50, v29
	;; [unrolled: 1-line block ×14, first 2 shown]
.LBB9_17:                               ; =>This Inner Loop Header: Depth=1
	s_mul_hi_i32 s9, s2, s23
	s_mul_i32 s8, s2, s23
	v_mov_b32_e32 v61, v1
	v_mov_b32_e32 v62, v0
	v_lshl_add_u64 v[0:1], s[8:9], 2, v[22:23]
	v_mov_b32_e32 v59, v3
	v_mov_b32_e32 v60, v2
	global_load_dwordx4 v[2:5], v[0:1], off
	v_mov_b32_e32 v55, 0
	v_mov_b32_e32 v56, 0
	;; [unrolled: 1-line block ×4, first 2 shown]
	v_add_u32_e32 v30, s2, v24
	v_ashrrev_i32_e32 v31, 31, v30
	v_cmp_lt_i32_e64 s[6:7], v37, v28
	v_cmp_lt_i32_e64 s[4:5], v38, v28
	v_cmp_lt_i32_e32 vcc, v36, v28
	v_cndmask_b32_e64 v63, v25, v37, s[6:7]
	v_lshlrev_b32_e32 v63, 2, v63
	s_or_b32 s6, s2, 16
	s_waitcnt vmcnt(0)
	ds_write_b128 v40, v[2:5]
	s_waitcnt lgkmcnt(0)
	s_barrier
	ds_read_b128 v[2:5], v41
	ds_read_b128 v[6:9], v34
	ds_read_b128 v[10:13], v34 offset:384
	ds_read_b128 v[64:67], v34 offset:768
	ds_read_b128 v[68:71], v34 offset:1152
	s_waitcnt lgkmcnt(3)
	;;#ASMSTART
	v_dot2_f32_f16 v55, v2, v6, v55
	;;#ASMEND
	s_nop 0
	;;#ASMSTART
	v_dot2_f32_f16 v55, v3, v7, v55
	;;#ASMEND
	s_nop 0
	;;#ASMSTART
	v_dot2_f32_f16 v55, v4, v8, v55
	;;#ASMEND
	s_nop 0
	;;#ASMSTART
	v_dot2_f32_f16 v55, v5, v9, v55
	;;#ASMEND
	s_waitcnt lgkmcnt(2)
	;;#ASMSTART
	v_dot2_f32_f16 v56, v2, v10, v56
	;;#ASMEND
	s_nop 0
	;;#ASMSTART
	v_dot2_f32_f16 v56, v3, v11, v56
	;;#ASMEND
	s_nop 0
	;;#ASMSTART
	v_dot2_f32_f16 v56, v4, v12, v56
	;;#ASMEND
	s_nop 0
	;;#ASMSTART
	v_dot2_f32_f16 v56, v5, v13, v56
	;;#ASMEND
	;; [unrolled: 16-line block ×4, first 2 shown]
	ds_read_b128 v[2:5], v41 offset:16
	ds_read_b128 v[6:9], v34 offset:16
	ds_read_b128 v[10:13], v34 offset:400
	ds_read_b128 v[64:67], v34 offset:784
	ds_read_b128 v[68:71], v34 offset:1168
	s_waitcnt lgkmcnt(3)
	;;#ASMSTART
	v_dot2_f32_f16 v55, v2, v6, v55
	;;#ASMEND
	s_nop 0
	;;#ASMSTART
	v_dot2_f32_f16 v55, v3, v7, v55
	;;#ASMEND
	s_nop 0
	;;#ASMSTART
	v_dot2_f32_f16 v55, v4, v8, v55
	;;#ASMEND
	s_nop 0
	;;#ASMSTART
	v_dot2_f32_f16 v55, v5, v9, v55
	;;#ASMEND
	s_waitcnt lgkmcnt(2)
	;;#ASMSTART
	v_dot2_f32_f16 v56, v2, v10, v56
	;;#ASMEND
	s_nop 0
	;;#ASMSTART
	v_dot2_f32_f16 v56, v3, v11, v56
	;;#ASMEND
	s_nop 0
	;;#ASMSTART
	v_dot2_f32_f16 v56, v4, v12, v56
	;;#ASMEND
	s_nop 0
	;;#ASMSTART
	v_dot2_f32_f16 v56, v5, v13, v56
	;;#ASMEND
	;; [unrolled: 16-line block ×4, first 2 shown]
	ds_read_b128 v[2:5], v41 offset:32
	ds_read_b128 v[6:9], v34 offset:32
	;; [unrolled: 1-line block ×5, first 2 shown]
	s_waitcnt lgkmcnt(3)
	;;#ASMSTART
	v_dot2_f32_f16 v55, v2, v6, v55
	;;#ASMEND
	s_nop 0
	;;#ASMSTART
	v_dot2_f32_f16 v55, v3, v7, v55
	;;#ASMEND
	s_nop 0
	;;#ASMSTART
	v_dot2_f32_f16 v55, v4, v8, v55
	;;#ASMEND
	s_nop 0
	;;#ASMSTART
	v_dot2_f32_f16 v55, v5, v9, v55
	;;#ASMEND
	s_waitcnt lgkmcnt(2)
	;;#ASMSTART
	v_dot2_f32_f16 v56, v2, v10, v56
	;;#ASMEND
	s_nop 0
	;;#ASMSTART
	v_dot2_f32_f16 v56, v3, v11, v56
	;;#ASMEND
	s_nop 0
	;;#ASMSTART
	v_dot2_f32_f16 v56, v4, v12, v56
	;;#ASMEND
	s_nop 0
	;;#ASMSTART
	v_dot2_f32_f16 v56, v5, v13, v56
	;;#ASMEND
	;; [unrolled: 16-line block ×4, first 2 shown]
	ds_read_b128 v[2:5], v41 offset:48
	ds_read_b128 v[6:9], v34 offset:48
	;; [unrolled: 1-line block ×5, first 2 shown]
	s_waitcnt lgkmcnt(3)
	;;#ASMSTART
	v_dot2_f32_f16 v55, v2, v6, v55
	;;#ASMEND
	s_nop 0
	;;#ASMSTART
	v_dot2_f32_f16 v55, v3, v7, v55
	;;#ASMEND
	s_nop 0
	;;#ASMSTART
	v_dot2_f32_f16 v55, v4, v8, v55
	;;#ASMEND
	s_nop 0
	;;#ASMSTART
	v_dot2_f32_f16 v55, v5, v9, v55
	;;#ASMEND
	s_waitcnt lgkmcnt(2)
	;;#ASMSTART
	v_dot2_f32_f16 v56, v2, v10, v56
	;;#ASMEND
	s_nop 0
	;;#ASMSTART
	v_dot2_f32_f16 v56, v3, v11, v56
	;;#ASMEND
	s_nop 0
	;;#ASMSTART
	v_dot2_f32_f16 v56, v4, v12, v56
	;;#ASMEND
	s_nop 0
	;;#ASMSTART
	v_dot2_f32_f16 v56, v5, v13, v56
	;;#ASMEND
	;; [unrolled: 16-line block ×4, first 2 shown]
	ds_read_b128 v[2:5], v41 offset:64
	ds_read_b128 v[6:9], v34 offset:64
	ds_read_b128 v[10:13], v34 offset:448
	ds_read_b128 v[64:67], v34 offset:832
	ds_read_b128 v[68:71], v34 offset:1216
	s_waitcnt lgkmcnt(3)
	;;#ASMSTART
	v_dot2_f32_f16 v55, v2, v6, v55
	;;#ASMEND
	s_nop 0
	;;#ASMSTART
	v_dot2_f32_f16 v55, v3, v7, v55
	;;#ASMEND
	s_nop 0
	;;#ASMSTART
	v_dot2_f32_f16 v55, v4, v8, v55
	;;#ASMEND
	s_nop 0
	;;#ASMSTART
	v_dot2_f32_f16 v55, v5, v9, v55
	;;#ASMEND
	s_waitcnt lgkmcnt(2)
	;;#ASMSTART
	v_dot2_f32_f16 v56, v2, v10, v56
	;;#ASMEND
	s_nop 0
	;;#ASMSTART
	v_dot2_f32_f16 v56, v3, v11, v56
	;;#ASMEND
	s_nop 0
	;;#ASMSTART
	v_dot2_f32_f16 v56, v4, v12, v56
	;;#ASMEND
	s_nop 0
	;;#ASMSTART
	v_dot2_f32_f16 v56, v5, v13, v56
	;;#ASMEND
	;; [unrolled: 16-line block ×4, first 2 shown]
	ds_read_b128 v[2:5], v41 offset:80
	ds_read_b128 v[6:9], v34 offset:80
	;; [unrolled: 1-line block ×5, first 2 shown]
	s_waitcnt lgkmcnt(3)
	;;#ASMSTART
	v_dot2_f32_f16 v55, v2, v6, v55
	;;#ASMEND
	s_nop 0
	;;#ASMSTART
	v_dot2_f32_f16 v55, v3, v7, v55
	;;#ASMEND
	s_nop 0
	;;#ASMSTART
	v_dot2_f32_f16 v55, v4, v8, v55
	;;#ASMEND
	s_nop 0
	;;#ASMSTART
	v_dot2_f32_f16 v55, v5, v9, v55
	;;#ASMEND
	s_waitcnt lgkmcnt(2)
	;;#ASMSTART
	v_dot2_f32_f16 v56, v2, v10, v56
	;;#ASMEND
	s_nop 0
	;;#ASMSTART
	v_dot2_f32_f16 v56, v3, v11, v56
	;;#ASMEND
	s_nop 0
	;;#ASMSTART
	v_dot2_f32_f16 v56, v4, v12, v56
	;;#ASMEND
	s_nop 0
	;;#ASMSTART
	v_dot2_f32_f16 v56, v5, v13, v56
	;;#ASMEND
	;; [unrolled: 16-line block ×4, first 2 shown]
	ds_read_b128 v[2:5], v41 offset:96
	ds_read_b128 v[6:9], v34 offset:96
	;; [unrolled: 1-line block ×5, first 2 shown]
	s_waitcnt lgkmcnt(3)
	;;#ASMSTART
	v_dot2_f32_f16 v55, v2, v6, v55
	;;#ASMEND
	s_nop 0
	;;#ASMSTART
	v_dot2_f32_f16 v55, v3, v7, v55
	;;#ASMEND
	s_nop 0
	;;#ASMSTART
	v_dot2_f32_f16 v55, v4, v8, v55
	;;#ASMEND
	s_nop 0
	;;#ASMSTART
	v_dot2_f32_f16 v55, v5, v9, v55
	;;#ASMEND
	s_waitcnt lgkmcnt(2)
	;;#ASMSTART
	v_dot2_f32_f16 v56, v2, v10, v56
	;;#ASMEND
	s_nop 0
	;;#ASMSTART
	v_dot2_f32_f16 v56, v3, v11, v56
	;;#ASMEND
	s_nop 0
	;;#ASMSTART
	v_dot2_f32_f16 v56, v4, v12, v56
	;;#ASMEND
	s_nop 0
	;;#ASMSTART
	v_dot2_f32_f16 v56, v5, v13, v56
	;;#ASMEND
	;; [unrolled: 16-line block ×4, first 2 shown]
	ds_read_b128 v[2:5], v41 offset:112
	ds_read_b128 v[6:9], v34 offset:112
	;; [unrolled: 1-line block ×5, first 2 shown]
	s_waitcnt lgkmcnt(3)
	;;#ASMSTART
	v_dot2_f32_f16 v55, v2, v6, v55
	;;#ASMEND
	s_nop 0
	;;#ASMSTART
	v_dot2_f32_f16 v55, v3, v7, v55
	;;#ASMEND
	s_nop 0
	;;#ASMSTART
	v_dot2_f32_f16 v55, v4, v8, v55
	;;#ASMEND
	s_nop 0
	;;#ASMSTART
	v_dot2_f32_f16 v55, v5, v9, v55
	;;#ASMEND
	s_waitcnt lgkmcnt(2)
	;;#ASMSTART
	v_dot2_f32_f16 v56, v2, v10, v56
	;;#ASMEND
	s_nop 0
	;;#ASMSTART
	v_dot2_f32_f16 v56, v3, v11, v56
	;;#ASMEND
	s_nop 0
	;;#ASMSTART
	v_dot2_f32_f16 v56, v4, v12, v56
	;;#ASMEND
	s_nop 0
	;;#ASMSTART
	v_dot2_f32_f16 v56, v5, v13, v56
	;;#ASMEND
	;; [unrolled: 16-line block ×4, first 2 shown]
	s_barrier
	global_load_dwordx4 v[2:5], v[0:1], off offset:128
	s_waitcnt vmcnt(0)
	ds_write_b128 v40, v[2:5]
	s_waitcnt lgkmcnt(0)
	s_barrier
	ds_read_b128 v[2:5], v41
	ds_read_b128 v[6:9], v34 offset:128
	ds_read_b128 v[10:13], v34 offset:512
	ds_read_b128 v[64:67], v34 offset:896
	ds_read_b128 v[68:71], v34 offset:1280
	s_waitcnt lgkmcnt(3)
	;;#ASMSTART
	v_dot2_f32_f16 v55, v2, v6, v55
	;;#ASMEND
	s_nop 0
	;;#ASMSTART
	v_dot2_f32_f16 v55, v3, v7, v55
	;;#ASMEND
	s_nop 0
	;;#ASMSTART
	v_dot2_f32_f16 v55, v4, v8, v55
	;;#ASMEND
	s_nop 0
	;;#ASMSTART
	v_dot2_f32_f16 v55, v5, v9, v55
	;;#ASMEND
	s_waitcnt lgkmcnt(2)
	;;#ASMSTART
	v_dot2_f32_f16 v56, v2, v10, v56
	;;#ASMEND
	s_nop 0
	;;#ASMSTART
	v_dot2_f32_f16 v56, v3, v11, v56
	;;#ASMEND
	s_nop 0
	;;#ASMSTART
	v_dot2_f32_f16 v56, v4, v12, v56
	;;#ASMEND
	s_nop 0
	;;#ASMSTART
	v_dot2_f32_f16 v56, v5, v13, v56
	;;#ASMEND
	;; [unrolled: 16-line block ×4, first 2 shown]
	ds_read_b128 v[2:5], v41 offset:16
	ds_read_b128 v[6:9], v34 offset:144
	;; [unrolled: 1-line block ×5, first 2 shown]
	s_waitcnt lgkmcnt(3)
	;;#ASMSTART
	v_dot2_f32_f16 v55, v2, v6, v55
	;;#ASMEND
	s_nop 0
	;;#ASMSTART
	v_dot2_f32_f16 v55, v3, v7, v55
	;;#ASMEND
	s_nop 0
	;;#ASMSTART
	v_dot2_f32_f16 v55, v4, v8, v55
	;;#ASMEND
	s_nop 0
	;;#ASMSTART
	v_dot2_f32_f16 v55, v5, v9, v55
	;;#ASMEND
	s_waitcnt lgkmcnt(2)
	;;#ASMSTART
	v_dot2_f32_f16 v56, v2, v10, v56
	;;#ASMEND
	s_nop 0
	;;#ASMSTART
	v_dot2_f32_f16 v56, v3, v11, v56
	;;#ASMEND
	s_nop 0
	;;#ASMSTART
	v_dot2_f32_f16 v56, v4, v12, v56
	;;#ASMEND
	s_nop 0
	;;#ASMSTART
	v_dot2_f32_f16 v56, v5, v13, v56
	;;#ASMEND
	;; [unrolled: 16-line block ×4, first 2 shown]
	ds_read_b128 v[2:5], v41 offset:32
	ds_read_b128 v[6:9], v34 offset:160
	ds_read_b128 v[10:13], v34 offset:544
	ds_read_b128 v[64:67], v34 offset:928
	ds_read_b128 v[68:71], v34 offset:1312
	s_waitcnt lgkmcnt(3)
	;;#ASMSTART
	v_dot2_f32_f16 v55, v2, v6, v55
	;;#ASMEND
	s_nop 0
	;;#ASMSTART
	v_dot2_f32_f16 v55, v3, v7, v55
	;;#ASMEND
	s_nop 0
	;;#ASMSTART
	v_dot2_f32_f16 v55, v4, v8, v55
	;;#ASMEND
	s_nop 0
	;;#ASMSTART
	v_dot2_f32_f16 v55, v5, v9, v55
	;;#ASMEND
	s_waitcnt lgkmcnt(2)
	;;#ASMSTART
	v_dot2_f32_f16 v56, v2, v10, v56
	;;#ASMEND
	s_nop 0
	;;#ASMSTART
	v_dot2_f32_f16 v56, v3, v11, v56
	;;#ASMEND
	s_nop 0
	;;#ASMSTART
	v_dot2_f32_f16 v56, v4, v12, v56
	;;#ASMEND
	s_nop 0
	;;#ASMSTART
	v_dot2_f32_f16 v56, v5, v13, v56
	;;#ASMEND
	;; [unrolled: 16-line block ×4, first 2 shown]
	ds_read_b128 v[2:5], v41 offset:48
	ds_read_b128 v[6:9], v34 offset:176
	;; [unrolled: 1-line block ×5, first 2 shown]
	s_waitcnt lgkmcnt(3)
	;;#ASMSTART
	v_dot2_f32_f16 v55, v2, v6, v55
	;;#ASMEND
	s_nop 0
	;;#ASMSTART
	v_dot2_f32_f16 v55, v3, v7, v55
	;;#ASMEND
	s_nop 0
	;;#ASMSTART
	v_dot2_f32_f16 v55, v4, v8, v55
	;;#ASMEND
	s_nop 0
	;;#ASMSTART
	v_dot2_f32_f16 v55, v5, v9, v55
	;;#ASMEND
	s_waitcnt lgkmcnt(2)
	;;#ASMSTART
	v_dot2_f32_f16 v56, v2, v10, v56
	;;#ASMEND
	s_nop 0
	;;#ASMSTART
	v_dot2_f32_f16 v56, v3, v11, v56
	;;#ASMEND
	s_nop 0
	;;#ASMSTART
	v_dot2_f32_f16 v56, v4, v12, v56
	;;#ASMEND
	s_nop 0
	;;#ASMSTART
	v_dot2_f32_f16 v56, v5, v13, v56
	;;#ASMEND
	;; [unrolled: 16-line block ×4, first 2 shown]
	ds_read_b128 v[2:5], v41 offset:64
	ds_read_b128 v[6:9], v34 offset:192
	;; [unrolled: 1-line block ×5, first 2 shown]
	s_waitcnt lgkmcnt(3)
	;;#ASMSTART
	v_dot2_f32_f16 v55, v2, v6, v55
	;;#ASMEND
	s_nop 0
	;;#ASMSTART
	v_dot2_f32_f16 v55, v3, v7, v55
	;;#ASMEND
	s_nop 0
	;;#ASMSTART
	v_dot2_f32_f16 v55, v4, v8, v55
	;;#ASMEND
	s_nop 0
	;;#ASMSTART
	v_dot2_f32_f16 v55, v5, v9, v55
	;;#ASMEND
	s_waitcnt lgkmcnt(2)
	;;#ASMSTART
	v_dot2_f32_f16 v56, v2, v10, v56
	;;#ASMEND
	s_nop 0
	;;#ASMSTART
	v_dot2_f32_f16 v56, v3, v11, v56
	;;#ASMEND
	s_nop 0
	;;#ASMSTART
	v_dot2_f32_f16 v56, v4, v12, v56
	;;#ASMEND
	s_nop 0
	;;#ASMSTART
	v_dot2_f32_f16 v56, v5, v13, v56
	;;#ASMEND
	;; [unrolled: 16-line block ×4, first 2 shown]
	ds_read_b128 v[2:5], v41 offset:80
	ds_read_b128 v[6:9], v34 offset:208
	;; [unrolled: 1-line block ×5, first 2 shown]
	s_waitcnt lgkmcnt(3)
	;;#ASMSTART
	v_dot2_f32_f16 v55, v2, v6, v55
	;;#ASMEND
	s_nop 0
	;;#ASMSTART
	v_dot2_f32_f16 v55, v3, v7, v55
	;;#ASMEND
	s_nop 0
	;;#ASMSTART
	v_dot2_f32_f16 v55, v4, v8, v55
	;;#ASMEND
	s_nop 0
	;;#ASMSTART
	v_dot2_f32_f16 v55, v5, v9, v55
	;;#ASMEND
	s_waitcnt lgkmcnt(2)
	;;#ASMSTART
	v_dot2_f32_f16 v56, v2, v10, v56
	;;#ASMEND
	s_nop 0
	;;#ASMSTART
	v_dot2_f32_f16 v56, v3, v11, v56
	;;#ASMEND
	s_nop 0
	;;#ASMSTART
	v_dot2_f32_f16 v56, v4, v12, v56
	;;#ASMEND
	s_nop 0
	;;#ASMSTART
	v_dot2_f32_f16 v56, v5, v13, v56
	;;#ASMEND
	;; [unrolled: 16-line block ×4, first 2 shown]
	ds_read_b128 v[2:5], v41 offset:96
	ds_read_b128 v[6:9], v34 offset:224
	;; [unrolled: 1-line block ×5, first 2 shown]
	s_waitcnt lgkmcnt(3)
	;;#ASMSTART
	v_dot2_f32_f16 v55, v2, v6, v55
	;;#ASMEND
	s_nop 0
	;;#ASMSTART
	v_dot2_f32_f16 v55, v3, v7, v55
	;;#ASMEND
	s_nop 0
	;; [unrolled: 4-line block ×3, first 2 shown]
	;;#ASMSTART
	v_dot2_f32_f16 v55, v5, v9, v55
	;;#ASMEND
	s_waitcnt lgkmcnt(2)
	;;#ASMSTART
	v_dot2_f32_f16 v56, v2, v10, v56
	;;#ASMEND
	s_nop 0
	;;#ASMSTART
	v_dot2_f32_f16 v56, v3, v11, v56
	;;#ASMEND
	s_nop 0
	;; [unrolled: 4-line block ×3, first 2 shown]
	;;#ASMSTART
	v_dot2_f32_f16 v56, v5, v13, v56
	;;#ASMEND
	s_waitcnt lgkmcnt(1)
	;;#ASMSTART
	v_dot2_f32_f16 v57, v2, v64, v57
	;;#ASMEND
	v_cndmask_b32_e64 v64, v25, v38, s[4:5]
	;;#ASMSTART
	v_dot2_f32_f16 v57, v3, v65, v57
	;;#ASMEND
	v_lshlrev_b32_e32 v64, 2, v64
	;;#ASMSTART
	v_dot2_f32_f16 v57, v4, v66, v57
	;;#ASMEND
	v_cmp_lt_i32_e64 s[4:5], v39, v28
	;;#ASMSTART
	v_dot2_f32_f16 v57, v5, v67, v57
	;;#ASMEND
	s_waitcnt lgkmcnt(0)
	;;#ASMSTART
	v_dot2_f32_f16 v58, v2, v68, v58
	;;#ASMEND
	s_nop 0
	;;#ASMSTART
	v_dot2_f32_f16 v58, v3, v69, v58
	;;#ASMEND
	s_nop 0
	;;#ASMSTART
	v_dot2_f32_f16 v58, v4, v70, v58
	;;#ASMEND
	v_cndmask_b32_e64 v65, v25, v39, s[4:5]
	;;#ASMSTART
	v_dot2_f32_f16 v58, v5, v71, v58
	;;#ASMEND
	ds_read_b128 v[2:5], v41 offset:112
	ds_read_b128 v[6:9], v34 offset:240
	;; [unrolled: 1-line block ×5, first 2 shown]
	s_waitcnt lgkmcnt(3)
	;;#ASMSTART
	v_dot2_f32_f16 v55, v2, v6, v55
	;;#ASMEND
	s_nop 0
	;;#ASMSTART
	v_dot2_f32_f16 v55, v3, v7, v55
	;;#ASMEND
	v_lshlrev_b32_e32 v65, 2, v65
	;;#ASMSTART
	v_dot2_f32_f16 v55, v4, v8, v55
	;;#ASMEND
	s_mul_hi_i32 s5, s2, s22
	;;#ASMSTART
	v_dot2_f32_f16 v55, v5, v9, v55
	;;#ASMEND
	s_waitcnt lgkmcnt(2)
	;;#ASMSTART
	v_dot2_f32_f16 v56, v2, v10, v56
	;;#ASMEND
	s_mul_i32 s4, s2, s22
	;;#ASMSTART
	v_dot2_f32_f16 v56, v3, v11, v56
	;;#ASMEND
	s_nop 0
	;;#ASMSTART
	v_dot2_f32_f16 v56, v4, v12, v56
	;;#ASMEND
	s_nop 0
	;;#ASMSTART
	v_dot2_f32_f16 v56, v5, v13, v56
	;;#ASMEND
	s_waitcnt lgkmcnt(1)
	;;#ASMSTART
	v_dot2_f32_f16 v57, v2, v66, v57
	;;#ASMEND
	s_nop 0
	;;#ASMSTART
	v_dot2_f32_f16 v57, v3, v67, v57
	;;#ASMEND
	s_nop 0
	;;#ASMSTART
	v_dot2_f32_f16 v57, v4, v68, v57
	;;#ASMEND
	s_nop 0
	;;#ASMSTART
	v_dot2_f32_f16 v57, v5, v69, v57
	;;#ASMEND
	s_waitcnt lgkmcnt(0)
	;;#ASMSTART
	v_dot2_f32_f16 v58, v2, v70, v58
	;;#ASMEND
	v_max_f32_e32 v70, v60, v60
	;;#ASMSTART
	v_dot2_f32_f16 v58, v3, v71, v58
	;;#ASMEND
	v_max_f32_e32 v71, v59, v59
	;;#ASMSTART
	v_dot2_f32_f16 v58, v4, v72, v58
	;;#ASMEND
	s_nop 0
	;;#ASMSTART
	v_dot2_f32_f16 v58, v5, v73, v58
	;;#ASMEND
	s_barrier
	global_load_dwordx4 v[0:3], v[0:1], off offset:256
	s_waitcnt vmcnt(0)
	ds_write_b128 v40, v[0:3]
	s_waitcnt lgkmcnt(0)
	s_barrier
	ds_read_b128 v[0:3], v41
	ds_read_b128 v[4:7], v34 offset:256
	ds_read_b128 v[8:11], v34 offset:640
	;; [unrolled: 1-line block ×4, first 2 shown]
	s_waitcnt lgkmcnt(3)
	;;#ASMSTART
	v_dot2_f32_f16 v55, v0, v4, v55
	;;#ASMEND
	s_nop 0
	;;#ASMSTART
	v_dot2_f32_f16 v55, v1, v5, v55
	;;#ASMEND
	s_nop 0
	;;#ASMSTART
	v_dot2_f32_f16 v55, v2, v6, v55
	;;#ASMEND
	s_nop 0
	;;#ASMSTART
	v_dot2_f32_f16 v55, v3, v7, v55
	;;#ASMEND
	s_waitcnt lgkmcnt(2)
	;;#ASMSTART
	v_dot2_f32_f16 v56, v0, v8, v56
	;;#ASMEND
	s_nop 0
	;;#ASMSTART
	v_dot2_f32_f16 v56, v1, v9, v56
	;;#ASMEND
	s_nop 0
	;;#ASMSTART
	v_dot2_f32_f16 v56, v2, v10, v56
	;;#ASMEND
	s_nop 0
	;;#ASMSTART
	v_dot2_f32_f16 v56, v3, v11, v56
	;;#ASMEND
	;; [unrolled: 16-line block ×4, first 2 shown]
	ds_read_b128 v[0:3], v41 offset:16
	ds_read_b128 v[4:7], v34 offset:272
	;; [unrolled: 1-line block ×5, first 2 shown]
	s_waitcnt lgkmcnt(3)
	;;#ASMSTART
	v_dot2_f32_f16 v55, v0, v4, v55
	;;#ASMEND
	s_nop 0
	;;#ASMSTART
	v_dot2_f32_f16 v55, v1, v5, v55
	;;#ASMEND
	s_nop 0
	;;#ASMSTART
	v_dot2_f32_f16 v55, v2, v6, v55
	;;#ASMEND
	s_nop 0
	;;#ASMSTART
	v_dot2_f32_f16 v55, v3, v7, v55
	;;#ASMEND
	s_waitcnt lgkmcnt(2)
	;;#ASMSTART
	v_dot2_f32_f16 v56, v0, v8, v56
	;;#ASMEND
	s_nop 0
	;;#ASMSTART
	v_dot2_f32_f16 v56, v1, v9, v56
	;;#ASMEND
	s_nop 0
	;;#ASMSTART
	v_dot2_f32_f16 v56, v2, v10, v56
	;;#ASMEND
	s_nop 0
	;;#ASMSTART
	v_dot2_f32_f16 v56, v3, v11, v56
	;;#ASMEND
	;; [unrolled: 16-line block ×4, first 2 shown]
	ds_read_b128 v[0:3], v41 offset:32
	ds_read_b128 v[4:7], v34 offset:288
	;; [unrolled: 1-line block ×5, first 2 shown]
	s_waitcnt lgkmcnt(3)
	;;#ASMSTART
	v_dot2_f32_f16 v55, v0, v4, v55
	;;#ASMEND
	s_nop 0
	;;#ASMSTART
	v_dot2_f32_f16 v55, v1, v5, v55
	;;#ASMEND
	s_nop 0
	;;#ASMSTART
	v_dot2_f32_f16 v55, v2, v6, v55
	;;#ASMEND
	s_nop 0
	;;#ASMSTART
	v_dot2_f32_f16 v55, v3, v7, v55
	;;#ASMEND
	s_waitcnt lgkmcnt(2)
	;;#ASMSTART
	v_dot2_f32_f16 v56, v0, v8, v56
	;;#ASMEND
	s_nop 0
	;;#ASMSTART
	v_dot2_f32_f16 v56, v1, v9, v56
	;;#ASMEND
	s_nop 0
	;;#ASMSTART
	v_dot2_f32_f16 v56, v2, v10, v56
	;;#ASMEND
	s_nop 0
	;;#ASMSTART
	v_dot2_f32_f16 v56, v3, v11, v56
	;;#ASMEND
	;; [unrolled: 16-line block ×4, first 2 shown]
	ds_read_b128 v[0:3], v41 offset:48
	ds_read_b128 v[4:7], v34 offset:304
	;; [unrolled: 1-line block ×5, first 2 shown]
	s_waitcnt lgkmcnt(3)
	;;#ASMSTART
	v_dot2_f32_f16 v55, v0, v4, v55
	;;#ASMEND
	s_nop 0
	;;#ASMSTART
	v_dot2_f32_f16 v55, v1, v5, v55
	;;#ASMEND
	s_nop 0
	;;#ASMSTART
	v_dot2_f32_f16 v55, v2, v6, v55
	;;#ASMEND
	s_nop 0
	;;#ASMSTART
	v_dot2_f32_f16 v55, v3, v7, v55
	;;#ASMEND
	s_waitcnt lgkmcnt(2)
	;;#ASMSTART
	v_dot2_f32_f16 v56, v0, v8, v56
	;;#ASMEND
	s_nop 0
	;;#ASMSTART
	v_dot2_f32_f16 v56, v1, v9, v56
	;;#ASMEND
	s_nop 0
	;;#ASMSTART
	v_dot2_f32_f16 v56, v2, v10, v56
	;;#ASMEND
	s_nop 0
	;;#ASMSTART
	v_dot2_f32_f16 v56, v3, v11, v56
	;;#ASMEND
	;; [unrolled: 16-line block ×4, first 2 shown]
	ds_read_b128 v[0:3], v41 offset:64
	ds_read_b128 v[4:7], v34 offset:320
	;; [unrolled: 1-line block ×5, first 2 shown]
	s_waitcnt lgkmcnt(3)
	;;#ASMSTART
	v_dot2_f32_f16 v55, v0, v4, v55
	;;#ASMEND
	s_nop 0
	;;#ASMSTART
	v_dot2_f32_f16 v55, v1, v5, v55
	;;#ASMEND
	s_nop 0
	;;#ASMSTART
	v_dot2_f32_f16 v55, v2, v6, v55
	;;#ASMEND
	s_nop 0
	;;#ASMSTART
	v_dot2_f32_f16 v55, v3, v7, v55
	;;#ASMEND
	s_waitcnt lgkmcnt(2)
	;;#ASMSTART
	v_dot2_f32_f16 v56, v0, v8, v56
	;;#ASMEND
	s_nop 0
	;;#ASMSTART
	v_dot2_f32_f16 v56, v1, v9, v56
	;;#ASMEND
	s_nop 0
	;;#ASMSTART
	v_dot2_f32_f16 v56, v2, v10, v56
	;;#ASMEND
	s_nop 0
	;;#ASMSTART
	v_dot2_f32_f16 v56, v3, v11, v56
	;;#ASMEND
	;; [unrolled: 16-line block ×4, first 2 shown]
	ds_read_b128 v[0:3], v41 offset:80
	ds_read_b128 v[4:7], v34 offset:336
	;; [unrolled: 1-line block ×5, first 2 shown]
	s_waitcnt lgkmcnt(3)
	;;#ASMSTART
	v_dot2_f32_f16 v55, v0, v4, v55
	;;#ASMEND
	s_nop 0
	;;#ASMSTART
	v_dot2_f32_f16 v55, v1, v5, v55
	;;#ASMEND
	s_nop 0
	;;#ASMSTART
	v_dot2_f32_f16 v55, v2, v6, v55
	;;#ASMEND
	s_nop 0
	;;#ASMSTART
	v_dot2_f32_f16 v55, v3, v7, v55
	;;#ASMEND
	s_waitcnt lgkmcnt(2)
	;;#ASMSTART
	v_dot2_f32_f16 v56, v0, v8, v56
	;;#ASMEND
	s_nop 0
	;;#ASMSTART
	v_dot2_f32_f16 v56, v1, v9, v56
	;;#ASMEND
	s_nop 0
	;;#ASMSTART
	v_dot2_f32_f16 v56, v2, v10, v56
	;;#ASMEND
	s_nop 0
	;;#ASMSTART
	v_dot2_f32_f16 v56, v3, v11, v56
	;;#ASMEND
	;; [unrolled: 16-line block ×4, first 2 shown]
	ds_read_b128 v[0:3], v41 offset:96
	ds_read_b128 v[4:7], v34 offset:352
	;; [unrolled: 1-line block ×5, first 2 shown]
	s_waitcnt lgkmcnt(3)
	;;#ASMSTART
	v_dot2_f32_f16 v55, v0, v4, v55
	;;#ASMEND
	s_nop 0
	;;#ASMSTART
	v_dot2_f32_f16 v55, v1, v5, v55
	;;#ASMEND
	s_nop 0
	;;#ASMSTART
	v_dot2_f32_f16 v55, v2, v6, v55
	;;#ASMEND
	s_nop 0
	;;#ASMSTART
	v_dot2_f32_f16 v55, v3, v7, v55
	;;#ASMEND
	s_waitcnt lgkmcnt(2)
	;;#ASMSTART
	v_dot2_f32_f16 v56, v0, v8, v56
	;;#ASMEND
	s_nop 0
	;;#ASMSTART
	v_dot2_f32_f16 v56, v1, v9, v56
	;;#ASMEND
	s_nop 0
	;;#ASMSTART
	v_dot2_f32_f16 v56, v2, v10, v56
	;;#ASMEND
	s_nop 0
	;;#ASMSTART
	v_dot2_f32_f16 v56, v3, v11, v56
	;;#ASMEND
	;; [unrolled: 16-line block ×4, first 2 shown]
	ds_read_b128 v[0:3], v41 offset:112
	ds_read_b128 v[66:69], v34 offset:368
	ds_read_b128 v[12:15], v34 offset:752
	ds_read_b128 v[8:11], v34 offset:1136
	ds_read_b128 v[4:7], v34 offset:1520
	s_waitcnt lgkmcnt(3)
	;;#ASMSTART
	v_dot2_f32_f16 v55, v0, v66, v55
	;;#ASMEND
	s_nop 0
	;;#ASMSTART
	v_dot2_f32_f16 v55, v1, v67, v55
	;;#ASMEND
	v_cndmask_b32_e32 v66, v25, v36, vcc
	;;#ASMSTART
	v_dot2_f32_f16 v55, v2, v68, v55
	;;#ASMEND
	v_max_f32_e32 v68, v62, v62
	;;#ASMSTART
	v_dot2_f32_f16 v55, v3, v69, v55
	;;#ASMEND
	s_waitcnt lgkmcnt(2)
	;;#ASMSTART
	v_dot2_f32_f16 v56, v0, v12, v56
	;;#ASMEND
	v_max_f32_e32 v69, v61, v61
	;;#ASMSTART
	v_dot2_f32_f16 v56, v1, v13, v56
	;;#ASMEND
	v_lshlrev_b32_e32 v66, 2, v66
	;;#ASMSTART
	v_dot2_f32_f16 v56, v2, v14, v56
	;;#ASMEND
	v_cmp_lt_i32_e32 vcc, v35, v28
	;;#ASMSTART
	v_dot2_f32_f16 v56, v3, v15, v56
	;;#ASMEND
	s_waitcnt lgkmcnt(1)
	;;#ASMSTART
	v_dot2_f32_f16 v57, v0, v8, v57
	;;#ASMEND
	v_lshl_add_u64 v[14:15], v[30:31], 1, s[36:37]
	;;#ASMSTART
	v_dot2_f32_f16 v57, v1, v9, v57
	;;#ASMEND
	v_lshl_add_u64 v[12:13], s[4:5], 2, v[26:27]
	;;#ASMSTART
	v_dot2_f32_f16 v57, v2, v10, v57
	;;#ASMEND
	v_cndmask_b32_e32 v67, v25, v35, vcc
	;;#ASMSTART
	v_dot2_f32_f16 v57, v3, v11, v57
	;;#ASMEND
	s_waitcnt lgkmcnt(0)
	;;#ASMSTART
	v_dot2_f32_f16 v58, v0, v4, v58
	;;#ASMEND
	v_lshlrev_b32_e32 v67, 2, v67
	;;#ASMSTART
	v_dot2_f32_f16 v58, v1, v5, v58
	;;#ASMEND
	s_mul_hi_i32 s5, s6, s22
	;;#ASMSTART
	v_dot2_f32_f16 v58, v2, v6, v58
	;;#ASMEND
	s_mul_i32 s4, s6, s22
	;;#ASMSTART
	v_dot2_f32_f16 v58, v3, v7, v58
	;;#ASMEND
	global_load_ushort v0, v[14:15], off
	s_barrier
	v_lshl_add_u64 v[8:9], s[4:5], 2, v[26:27]
	s_waitcnt vmcnt(0)
	v_cvt_f32_f16_e32 v0, v0
	v_add_f32_e32 v4, v55, v0
	v_add_f32_e32 v5, v56, v0
	;; [unrolled: 1-line block ×5, first 2 shown]
	v_max_f32_e32 v0, v68, v0
	v_add_f32_e32 v1, 0x40051340, v5
	ds_bpermute_b32 v10, v63, v0
	v_add_f32_e32 v2, 0x40051340, v6
	v_add_f32_e32 v3, 0x40051340, v7
	v_max_f32_e32 v1, v69, v1
	v_max_f32_e32 v2, v70, v2
	v_max_f32_e32 v3, v71, v3
	ds_bpermute_b32 v11, v63, v1
	ds_bpermute_b32 v14, v63, v2
	ds_bpermute_b32 v15, v63, v3
	s_waitcnt lgkmcnt(3)
	v_max_f32_e32 v10, v10, v10
	v_max_f32_e32 v0, v0, v10
	s_waitcnt lgkmcnt(2)
	v_max_f32_e32 v11, v11, v11
	ds_bpermute_b32 v10, v64, v0
	s_waitcnt lgkmcnt(2)
	v_max_f32_e32 v14, v14, v14
	s_waitcnt lgkmcnt(1)
	v_max_f32_e32 v15, v15, v15
	v_max_f32_e32 v1, v1, v11
	v_max_f32_e32 v2, v2, v14
	v_max_f32_e32 v3, v3, v15
	ds_bpermute_b32 v11, v64, v1
	ds_bpermute_b32 v14, v64, v2
	ds_bpermute_b32 v15, v64, v3
	s_waitcnt lgkmcnt(3)
	v_max_f32_e32 v10, v10, v10
	v_max_f32_e32 v0, v0, v10
	s_waitcnt lgkmcnt(2)
	v_max_f32_e32 v11, v11, v11
	ds_bpermute_b32 v10, v65, v0
	s_waitcnt lgkmcnt(2)
	v_max_f32_e32 v14, v14, v14
	s_waitcnt lgkmcnt(1)
	v_max_f32_e32 v15, v15, v15
	;; [unrolled: 16-line block ×4, first 2 shown]
	v_max_f32_e32 v1, v1, v11
	v_max_f32_e32 v2, v2, v14
	;; [unrolled: 1-line block ×3, first 2 shown]
	ds_bpermute_b32 v11, v67, v1
	ds_bpermute_b32 v14, v67, v2
	;; [unrolled: 1-line block ×3, first 2 shown]
	s_waitcnt lgkmcnt(3)
	v_max_f32_e32 v10, v10, v10
	v_max_f32_e32 v0, v0, v10
	s_waitcnt lgkmcnt(2)
	v_max_f32_e32 v11, v11, v11
	v_sub_f32_e32 v10, v62, v0
	s_waitcnt lgkmcnt(1)
	v_max_f32_e32 v14, v14, v14
	s_waitcnt lgkmcnt(0)
	v_max_f32_e32 v15, v15, v15
	v_max_f32_e32 v1, v1, v11
	v_sub_f32_e32 v11, v4, v0
	v_mul_f32_e32 v4, 0x3fb8aa3b, v10
	v_max_f32_e32 v2, v2, v14
	v_max_f32_e32 v3, v3, v15
	v_sub_f32_e32 v14, v61, v1
	v_sub_f32_e32 v15, v5, v1
	v_mul_f32_e32 v5, 0x3fb8aa3b, v11
	v_fma_f32 v61, v10, s28, -v4
	v_rndne_f32_e32 v69, v4
	v_fma_f32 v62, v11, s28, -v5
	v_fmac_f32_e32 v61, 0x32a5705f, v10
	v_sub_f32_e32 v4, v4, v69
	v_rndne_f32_e32 v70, v5
	v_sub_f32_e32 v31, v6, v2
	v_mul_f32_e32 v6, 0x3fb8aa3b, v14
	v_add_f32_e32 v61, v4, v61
	v_fmac_f32_e32 v62, 0x32a5705f, v11
	v_sub_f32_e32 v4, v5, v70
	v_fma_f32 v63, v14, s28, -v6
	v_add_f32_e32 v62, v4, v62
	v_rndne_f32_e32 v4, v6
	v_sub_f32_e32 v30, v60, v2
	v_sub_f32_e32 v56, v7, v3
	v_mul_f32_e32 v7, 0x3fb8aa3b, v15
	v_fmac_f32_e32 v63, 0x32a5705f, v14
	v_sub_f32_e32 v5, v6, v4
	v_mul_f32_e32 v57, 0x3fb8aa3b, v30
	v_fma_f32 v64, v15, s28, -v7
	v_add_f32_e32 v5, v5, v63
	v_rndne_f32_e32 v63, v7
	v_fma_f32 v65, v30, s28, -v57
	v_fmac_f32_e32 v64, 0x32a5705f, v15
	v_sub_f32_e32 v6, v7, v63
	v_rndne_f32_e32 v71, v57
	v_mul_f32_e32 v58, 0x3fb8aa3b, v31
	v_add_f32_e32 v64, v6, v64
	v_fmac_f32_e32 v65, 0x32a5705f, v30
	v_sub_f32_e32 v6, v57, v71
	v_sub_f32_e32 v55, v59, v3
	v_fma_f32 v66, v31, s28, -v58
	v_add_f32_e32 v57, v6, v65
	v_rndne_f32_e32 v65, v58
	v_mul_f32_e32 v59, 0x3fb8aa3b, v55
	v_fmac_f32_e32 v66, 0x32a5705f, v31
	v_sub_f32_e32 v6, v58, v65
	v_fma_f32 v67, v55, s28, -v59
	v_add_f32_e32 v58, v6, v66
	v_rndne_f32_e32 v66, v59
	v_cvt_i32_f32_e32 v4, v4
	v_exp_f32_e32 v5, v5
	v_mul_f32_e32 v60, 0x3fb8aa3b, v56
	v_fmac_f32_e32 v67, 0x32a5705f, v55
	v_sub_f32_e32 v6, v59, v66
	v_fma_f32 v68, v56, s28, -v60
	v_add_f32_e32 v59, v6, v67
	v_rndne_f32_e32 v67, v60
	v_fmac_f32_e32 v68, 0x32a5705f, v56
	v_sub_f32_e32 v6, v60, v67
	v_add_f32_e32 v60, v6, v68
	v_ldexp_f32 v68, v5, v4
	global_load_dwordx4 v[4:7], v[12:13], off
	v_cvt_i32_f32_e32 v12, v69
	v_cvt_i32_f32_e32 v13, v70
	;; [unrolled: 1-line block ×7, first 2 shown]
	v_exp_f32_e32 v61, v61
	v_exp_f32_e32 v62, v62
	;; [unrolled: 1-line block ×7, first 2 shown]
	v_cmp_ngt_f32_e32 vcc, s29, v14
	v_ldexp_f32 v63, v64, v63
	v_cmp_ngt_f32_e64 s[4:5], s29, v15
	v_ldexp_f32 v57, v57, v69
	v_cmp_ngt_f32_e64 s[6:7], s29, v30
	;; [unrolled: 2-line block ×7, first 2 shown]
	v_cndmask_b32_e64 v12, 0, v12, s[8:9]
	v_cmp_nlt_f32_e64 s[8:9], s38, v10
	v_cndmask_b32_e64 v13, 0, v13, s[16:17]
	v_cmp_nlt_f32_e64 s[16:17], s38, v11
	v_cndmask_b32_e32 v11, 0, v68, vcc
	v_cmp_nlt_f32_e32 vcc, s38, v14
	v_cndmask_b32_e64 v14, 0, v63, s[4:5]
	v_cmp_nlt_f32_e64 s[4:5], s38, v15
	v_cndmask_b32_e64 v15, 0, v57, s[6:7]
	v_cmp_nlt_f32_e64 s[6:7], s38, v30
	;; [unrolled: 2-line block ×5, first 2 shown]
	v_cndmask_b32_e64 v10, v44, v12, s[8:9]
	v_cndmask_b32_e64 v12, v44, v13, s[16:17]
	v_cndmask_b32_e64 v13, v44, v14, s[4:5]
	v_cndmask_b32_e64 v14, v44, v15, s[6:7]
	v_cndmask_b32_e64 v30, v44, v30, s[10:11]
	v_cndmask_b32_e64 v15, v44, v31, s[12:13]
	v_cndmask_b32_e64 v31, v44, v55, s[14:15]
	v_cndmask_b32_e32 v11, v44, v11, vcc
	v_cvt_f16_f32_e32 v55, v10
	v_cvt_f16_f32_e32 v61, v14
	v_pk_fma_f32 v[18:19], v[18:19], v[14:15], v[30:31]
	v_cvt_f16_f32_e32 v14, v15
	v_cvt_f16_f32_e32 v60, v11
	v_pk_fma_f32 v[20:21], v[20:21], v[10:11], v[12:13]
	v_cvt_pk_f16_f32 v11, v30, v31
	v_cvt_pk_f16_f32 v10, v12, v13
	ds_write_b64 v45, v[10:11]
	s_waitcnt vmcnt(0)
	ds_write_b128 v43, v[4:7]
	s_waitcnt lgkmcnt(0)
	s_barrier
	ds_read_b128 v[4:7], v42
	ds_read2_b64 v[10:13], v46 offset1:32
	ds_read_b128 v[56:59], v42 offset:16
	v_mul_u32_u24_e32 v14, 0x10001, v14
	v_mul_u32_u24_e32 v55, 0x10001, v55
	v_pk_mul_f16 v15, v29, v14
	s_waitcnt lgkmcnt(2)
	v_mul_u32_u24_sdwa v29, v4, s39 dst_sel:DWORD dst_unused:UNUSED_PAD src0_sel:WORD_0 src1_sel:DWORD
	v_mul_u32_u24_sdwa v62, v5, s39 dst_sel:DWORD dst_unused:UNUSED_PAD src0_sel:WORD_1 src1_sel:DWORD
	v_pk_mul_f16 v14, v48, v14
	v_pk_mul_f16 v48, v54, v55
	s_waitcnt lgkmcnt(1)
	v_pk_fma_f16 v14, v10, v62, v14
	v_pk_fma_f16 v15, v11, v62, v15
	;; [unrolled: 1-line block ×3, first 2 shown]
	v_pk_mul_f16 v29, v10, v29
	s_waitcnt lgkmcnt(0)
	v_mul_u32_u24_sdwa v67, v56, s39 dst_sel:DWORD dst_unused:UNUSED_PAD src0_sel:WORD_0 src1_sel:DWORD
	v_mul_u32_u24_sdwa v68, v56, s39 dst_sel:DWORD dst_unused:UNUSED_PAD src0_sel:WORD_1 src1_sel:DWORD
	v_mul_u32_u24_sdwa v69, v57, s39 dst_sel:DWORD dst_unused:UNUSED_PAD src0_sel:WORD_0 src1_sel:DWORD
	v_mul_u32_u24_sdwa v70, v57, s39 dst_sel:DWORD dst_unused:UNUSED_PAD src0_sel:WORD_1 src1_sel:DWORD
	v_pk_fma_f16 v29, v53, v55, v29
	ds_read_b128 v[54:57], v42 offset:32
	v_mul_u32_u24_e32 v48, 0x10001, v60
	v_mul_u32_u24_sdwa v30, v4, s39 dst_sel:DWORD dst_unused:UNUSED_PAD src0_sel:WORD_1 src1_sel:DWORD
	v_mul_u32_u24_sdwa v31, v5, s39 dst_sel:DWORD dst_unused:UNUSED_PAD src0_sel:WORD_0 src1_sel:DWORD
	v_mul_u32_u24_e32 v53, 0x10001, v61
	v_pk_mul_f16 v52, v52, v48
	v_mul_u32_u24_sdwa v63, v6, s39 dst_sel:DWORD dst_unused:UNUSED_PAD src0_sel:WORD_0 src1_sel:DWORD
	v_mul_u32_u24_sdwa v64, v6, s39 dst_sel:DWORD dst_unused:UNUSED_PAD src0_sel:WORD_1 src1_sel:DWORD
	v_mul_u32_u24_sdwa v65, v7, s39 dst_sel:DWORD dst_unused:UNUSED_PAD src0_sel:WORD_0 src1_sel:DWORD
	v_mul_u32_u24_sdwa v66, v7, s39 dst_sel:DWORD dst_unused:UNUSED_PAD src0_sel:WORD_1 src1_sel:DWORD
	ds_read2_b64 v[4:7], v46 offset0:64 offset1:96
	v_pk_mul_f16 v50, v50, v53
	v_pk_fma_f16 v52, v11, v30, v52
	v_pk_mul_f16 v30, v10, v30
	v_pk_mul_f16 v10, v10, v31
	v_pk_fma_f16 v11, v11, v31, v50
	v_pk_fma_f16 v30, v51, v48, v30
	v_pk_fma_f16 v10, v49, v53, v10
	ds_read_b128 v[48:51], v42 offset:48
	v_pk_fma_f16 v14, v12, v66, v14
	v_pk_fma_f16 v15, v13, v66, v15
	s_waitcnt lgkmcnt(2)
	v_mul_u32_u24_sdwa v31, v54, s39 dst_sel:DWORD dst_unused:UNUSED_PAD src0_sel:WORD_0 src1_sel:DWORD
	v_pk_fma_f16 v53, v13, v63, v62
	v_pk_fma_f16 v29, v12, v63, v29
	v_mul_u32_u24_sdwa v60, v54, s39 dst_sel:DWORD dst_unused:UNUSED_PAD src0_sel:WORD_1 src1_sel:DWORD
	v_pk_fma_f16 v52, v13, v64, v52
	v_pk_fma_f16 v30, v12, v64, v30
	;; [unrolled: 1-line block ×4, first 2 shown]
	ds_read2_b64 v[10:13], v46 offset0:128 offset1:160
	v_mul_u32_u24_sdwa v71, v58, s39 dst_sel:DWORD dst_unused:UNUSED_PAD src0_sel:WORD_0 src1_sel:DWORD
	v_mul_u32_u24_sdwa v58, v58, s39 dst_sel:DWORD dst_unused:UNUSED_PAD src0_sel:WORD_1 src1_sel:DWORD
	v_mul_u32_u24_sdwa v72, v59, s39 dst_sel:DWORD dst_unused:UNUSED_PAD src0_sel:WORD_0 src1_sel:DWORD
	v_mul_u32_u24_sdwa v59, v59, s39 dst_sel:DWORD dst_unused:UNUSED_PAD src0_sel:WORD_1 src1_sel:DWORD
	s_waitcnt lgkmcnt(2)
	v_pk_fma_f16 v14, v4, v70, v14
	v_pk_fma_f16 v15, v5, v70, v15
	v_pk_fma_f16 v66, v5, v67, v53
	v_pk_fma_f16 v70, v5, v68, v52
	v_pk_fma_f16 v5, v5, v69, v54
	v_pk_fma_f16 v29, v4, v67, v29
	v_pk_fma_f16 v30, v4, v68, v30
	v_pk_fma_f16 v4, v4, v69, v62
	v_mul_u32_u24_sdwa v61, v55, s39 dst_sel:DWORD dst_unused:UNUSED_PAD src0_sel:WORD_0 src1_sel:DWORD
	v_mul_u32_u24_sdwa v63, v55, s39 dst_sel:DWORD dst_unused:UNUSED_PAD src0_sel:WORD_1 src1_sel:DWORD
	ds_read2_b64 v[52:55], v46 offset0:192 offset1:224
	v_pk_fma_f16 v14, v6, v59, v14
	v_pk_fma_f16 v15, v7, v59, v15
	s_waitcnt lgkmcnt(2)
	v_mul_u32_u24_sdwa v59, v48, s39 dst_sel:DWORD dst_unused:UNUSED_PAD src0_sel:WORD_0 src1_sel:DWORD
	v_pk_fma_f16 v62, v7, v71, v66
	v_pk_fma_f16 v29, v6, v71, v29
	v_mul_u32_u24_sdwa v66, v48, s39 dst_sel:DWORD dst_unused:UNUSED_PAD src0_sel:WORD_1 src1_sel:DWORD
	v_pk_fma_f16 v48, v7, v58, v70
	v_pk_fma_f16 v30, v6, v58, v30
	;; [unrolled: 1-line block ×4, first 2 shown]
	ds_read_b128 v[4:7], v42 offset:64
	v_mul_u32_u24_sdwa v58, v49, s39 dst_sel:DWORD dst_unused:UNUSED_PAD src0_sel:WORD_0 src1_sel:DWORD
	v_mul_u32_u24_sdwa v69, v49, s39 dst_sel:DWORD dst_unused:UNUSED_PAD src0_sel:WORD_1 src1_sel:DWORD
	v_mul_u32_u24_sdwa v70, v50, s39 dst_sel:DWORD dst_unused:UNUSED_PAD src0_sel:WORD_0 src1_sel:DWORD
	v_mul_u32_u24_sdwa v71, v50, s39 dst_sel:DWORD dst_unused:UNUSED_PAD src0_sel:WORD_1 src1_sel:DWORD
	;; [unrolled: 2-line block ×3, first 2 shown]
	s_waitcnt lgkmcnt(2)
	v_pk_fma_f16 v14, v10, v63, v14
	v_pk_fma_f16 v15, v11, v63, v15
	;; [unrolled: 1-line block ×3, first 2 shown]
	ds_read_b128 v[48:51], v42 offset:80
	v_mul_u32_u24_sdwa v64, v56, s39 dst_sel:DWORD dst_unused:UNUSED_PAD src0_sel:WORD_0 src1_sel:DWORD
	v_mul_u32_u24_sdwa v56, v56, s39 dst_sel:DWORD dst_unused:UNUSED_PAD src0_sel:WORD_1 src1_sel:DWORD
	v_mul_u32_u24_sdwa v65, v57, s39 dst_sel:DWORD dst_unused:UNUSED_PAD src0_sel:WORD_0 src1_sel:DWORD
	v_mul_u32_u24_sdwa v57, v57, s39 dst_sel:DWORD dst_unused:UNUSED_PAD src0_sel:WORD_1 src1_sel:DWORD
	v_pk_fma_f16 v62, v11, v31, v62
	v_pk_fma_f16 v11, v11, v61, v67
	;; [unrolled: 1-line block ×13, first 2 shown]
	s_waitcnt lgkmcnt(1)
	v_mul_u32_u24_sdwa v31, v4, s39 dst_sel:DWORD dst_unused:UNUSED_PAD src0_sel:WORD_0 src1_sel:DWORD
	v_mul_u32_u24_sdwa v60, v4, s39 dst_sel:DWORD dst_unused:UNUSED_PAD src0_sel:WORD_1 src1_sel:DWORD
	v_mul_u32_u24_sdwa v56, v5, s39 dst_sel:DWORD dst_unused:UNUSED_PAD src0_sel:WORD_0 src1_sel:DWORD
	v_mul_u32_u24_sdwa v62, v5, s39 dst_sel:DWORD dst_unused:UNUSED_PAD src0_sel:WORD_1 src1_sel:DWORD
	;; [unrolled: 2-line block ×4, first 2 shown]
	ds_read2_b64 v[4:7], v47 offset1:32
	v_pk_fma_f16 v14, v52, v69, v14
	v_pk_fma_f16 v15, v53, v69, v15
	;; [unrolled: 1-line block ×8, first 2 shown]
	s_waitcnt lgkmcnt(1)
	v_mul_u32_u24_sdwa v58, v48, s39 dst_sel:DWORD dst_unused:UNUSED_PAD src0_sel:WORD_0 src1_sel:DWORD
	v_pk_fma_f16 v57, v55, v70, v57
	v_pk_fma_f16 v29, v54, v70, v29
	v_mul_u32_u24_sdwa v59, v48, s39 dst_sel:DWORD dst_unused:UNUSED_PAD src0_sel:WORD_1 src1_sel:DWORD
	v_pk_fma_f16 v61, v55, v71, v61
	v_pk_fma_f16 v30, v54, v71, v30
	v_mul_u32_u24_sdwa v66, v49, s39 dst_sel:DWORD dst_unused:UNUSED_PAD src0_sel:WORD_0 src1_sel:DWORD
	v_pk_fma_f16 v53, v55, v72, v53
	v_pk_fma_f16 v52, v54, v72, v52
	v_mul_u32_u24_sdwa v68, v49, s39 dst_sel:DWORD dst_unused:UNUSED_PAD src0_sel:WORD_1 src1_sel:DWORD
	v_mul_u32_u24_sdwa v69, v50, s39 dst_sel:DWORD dst_unused:UNUSED_PAD src0_sel:WORD_0 src1_sel:DWORD
	v_mul_u32_u24_sdwa v70, v50, s39 dst_sel:DWORD dst_unused:UNUSED_PAD src0_sel:WORD_1 src1_sel:DWORD
	v_mul_u32_u24_sdwa v71, v51, s39 dst_sel:DWORD dst_unused:UNUSED_PAD src0_sel:WORD_0 src1_sel:DWORD
	v_mul_u32_u24_sdwa v72, v51, s39 dst_sel:DWORD dst_unused:UNUSED_PAD src0_sel:WORD_1 src1_sel:DWORD
	ds_read_b128 v[48:51], v42 offset:96
	ds_read2_b64 v[10:13], v47 offset0:64 offset1:96
	v_pk_fma_f16 v14, v54, v73, v14
	v_pk_fma_f16 v15, v55, v73, v15
	s_waitcnt lgkmcnt(2)
	v_pk_fma_f16 v14, v4, v62, v14
	v_pk_fma_f16 v15, v5, v62, v15
	;; [unrolled: 1-line block ×8, first 2 shown]
	ds_read_b128 v[52:55], v42 offset:112
	v_pk_fma_f16 v14, v6, v67, v14
	v_pk_fma_f16 v15, v7, v67, v15
	s_waitcnt lgkmcnt(2)
	v_mul_u32_u24_sdwa v31, v48, s39 dst_sel:DWORD dst_unused:UNUSED_PAD src0_sel:WORD_0 src1_sel:DWORD
	v_pk_fma_f16 v56, v7, v63, v57
	v_pk_fma_f16 v29, v6, v63, v29
	v_mul_u32_u24_sdwa v57, v48, s39 dst_sel:DWORD dst_unused:UNUSED_PAD src0_sel:WORD_1 src1_sel:DWORD
	v_pk_fma_f16 v48, v7, v64, v61
	v_pk_fma_f16 v30, v6, v64, v30
	;; [unrolled: 1-line block ×4, first 2 shown]
	s_waitcnt lgkmcnt(1)
	v_pk_fma_f16 v14, v10, v68, v14
	v_pk_fma_f16 v15, v11, v68, v15
	;; [unrolled: 1-line block ×8, first 2 shown]
	v_mul_u32_u24_sdwa v60, v49, s39 dst_sel:DWORD dst_unused:UNUSED_PAD src0_sel:WORD_0 src1_sel:DWORD
	v_mul_u32_u24_sdwa v63, v49, s39 dst_sel:DWORD dst_unused:UNUSED_PAD src0_sel:WORD_1 src1_sel:DWORD
	v_mul_u32_u24_sdwa v64, v50, s39 dst_sel:DWORD dst_unused:UNUSED_PAD src0_sel:WORD_0 src1_sel:DWORD
	v_mul_u32_u24_sdwa v65, v50, s39 dst_sel:DWORD dst_unused:UNUSED_PAD src0_sel:WORD_1 src1_sel:DWORD
	;; [unrolled: 2-line block ×3, first 2 shown]
	ds_read2_b64 v[4:7], v47 offset0:128 offset1:160
	ds_read2_b64 v[48:51], v47 offset0:192 offset1:224
	s_waitcnt lgkmcnt(0)
	s_barrier
	v_pk_fma_f16 v14, v12, v72, v14
	v_pk_fma_f16 v15, v13, v72, v15
	;; [unrolled: 1-line block ×8, first 2 shown]
	global_load_dwordx4 v[8:11], v[8:9], off
	v_pk_fma_f16 v14, v4, v63, v14
	v_pk_fma_f16 v15, v5, v63, v15
	;; [unrolled: 1-line block ×8, first 2 shown]
	v_mul_u32_u24_sdwa v58, v52, s39 dst_sel:DWORD dst_unused:UNUSED_PAD src0_sel:WORD_0 src1_sel:DWORD
	v_mul_u32_u24_sdwa v52, v52, s39 dst_sel:DWORD dst_unused:UNUSED_PAD src0_sel:WORD_1 src1_sel:DWORD
	v_mul_u32_u24_sdwa v61, v53, s39 dst_sel:DWORD dst_unused:UNUSED_PAD src0_sel:WORD_0 src1_sel:DWORD
	v_mul_u32_u24_sdwa v53, v53, s39 dst_sel:DWORD dst_unused:UNUSED_PAD src0_sel:WORD_1 src1_sel:DWORD
	v_pk_fma_f16 v12, v6, v73, v14
	v_pk_fma_f16 v14, v7, v73, v15
	v_pk_fma_f16 v15, v7, v64, v56
	v_pk_fma_f16 v30, v7, v65, v59
	v_pk_fma_f16 v5, v7, v67, v5
	v_pk_fma_f16 v7, v6, v64, v13
	v_pk_fma_f16 v13, v6, v65, v29
	v_pk_fma_f16 v4, v6, v67, v4
	v_mul_u32_u24_sdwa v62, v54, s39 dst_sel:DWORD dst_unused:UNUSED_PAD src0_sel:WORD_0 src1_sel:DWORD
	v_mul_u32_u24_sdwa v54, v54, s39 dst_sel:DWORD dst_unused:UNUSED_PAD src0_sel:WORD_1 src1_sel:DWORD
	v_mul_u32_u24_sdwa v66, v55, s39 dst_sel:DWORD dst_unused:UNUSED_PAD src0_sel:WORD_0 src1_sel:DWORD
	v_mul_u32_u24_sdwa v55, v55, s39 dst_sel:DWORD dst_unused:UNUSED_PAD src0_sel:WORD_1 src1_sel:DWORD
	v_pk_fma_f16 v6, v48, v53, v12
	v_pk_fma_f16 v12, v49, v53, v14
	;; [unrolled: 1-line block ×16, first 2 shown]
	s_waitcnt vmcnt(0)
	ds_write_b128 v43, v[8:11]
	s_waitcnt lgkmcnt(0)
	s_barrier
	ds_read_b128 v[4:7], v42 offset:128
	ds_read_b128 v[8:11], v42 offset:144
	;; [unrolled: 1-line block ×4, first 2 shown]
	s_waitcnt lgkmcnt(3)
	v_mul_u32_u24_sdwa v57, v4, s39 dst_sel:DWORD dst_unused:UNUSED_PAD src0_sel:WORD_0 src1_sel:DWORD
	v_mul_u32_u24_sdwa v58, v4, s39 dst_sel:DWORD dst_unused:UNUSED_PAD src0_sel:WORD_1 src1_sel:DWORD
	v_mul_u32_u24_sdwa v59, v5, s39 dst_sel:DWORD dst_unused:UNUSED_PAD src0_sel:WORD_0 src1_sel:DWORD
	v_mul_u32_u24_sdwa v60, v5, s39 dst_sel:DWORD dst_unused:UNUSED_PAD src0_sel:WORD_1 src1_sel:DWORD
	;; [unrolled: 2-line block ×4, first 2 shown]
	ds_read2_b64 v[4:7], v46 offset1:32
	s_waitcnt lgkmcnt(3)
	v_mul_u32_u24_sdwa v66, v9, s39 dst_sel:DWORD dst_unused:UNUSED_PAD src0_sel:WORD_0 src1_sel:DWORD
	v_mul_u32_u24_sdwa v67, v9, s39 dst_sel:DWORD dst_unused:UNUSED_PAD src0_sel:WORD_1 src1_sel:DWORD
	v_mul_u32_u24_sdwa v68, v10, s39 dst_sel:DWORD dst_unused:UNUSED_PAD src0_sel:WORD_0 src1_sel:DWORD
	v_mul_u32_u24_sdwa v69, v10, s39 dst_sel:DWORD dst_unused:UNUSED_PAD src0_sel:WORD_1 src1_sel:DWORD
	;; [unrolled: 2-line block ×3, first 2 shown]
	s_waitcnt lgkmcnt(2)
	v_mul_u32_u24_sdwa v72, v12, s39 dst_sel:DWORD dst_unused:UNUSED_PAD src0_sel:WORD_0 src1_sel:DWORD
	v_mul_u32_u24_sdwa v73, v12, s39 dst_sel:DWORD dst_unused:UNUSED_PAD src0_sel:WORD_1 src1_sel:DWORD
	v_mul_u32_u24_sdwa v74, v13, s39 dst_sel:DWORD dst_unused:UNUSED_PAD src0_sel:WORD_0 src1_sel:DWORD
	v_mul_u32_u24_sdwa v75, v13, s39 dst_sel:DWORD dst_unused:UNUSED_PAD src0_sel:WORD_1 src1_sel:DWORD
	;; [unrolled: 2-line block ×3, first 2 shown]
	s_waitcnt lgkmcnt(0)
	v_pk_fma_f16 v9, v4, v57, v55
	v_pk_fma_f16 v10, v5, v57, v30
	;; [unrolled: 1-line block ×8, first 2 shown]
	v_mul_u32_u24_sdwa v78, v15, s39 dst_sel:DWORD dst_unused:UNUSED_PAD src0_sel:WORD_0 src1_sel:DWORD
	v_mul_u32_u24_sdwa v79, v15, s39 dst_sel:DWORD dst_unused:UNUSED_PAD src0_sel:WORD_1 src1_sel:DWORD
	v_pk_fma_f16 v9, v6, v61, v9
	v_pk_fma_f16 v10, v7, v61, v10
	;; [unrolled: 1-line block ×8, first 2 shown]
	ds_read2_b64 v[4:7], v46 offset0:64 offset1:96
	v_mul_u32_u24_sdwa v65, v8, s39 dst_sel:DWORD dst_unused:UNUSED_PAD src0_sel:WORD_0 src1_sel:DWORD
	v_mul_u32_u24_sdwa v8, v8, s39 dst_sel:DWORD dst_unused:UNUSED_PAD src0_sel:WORD_1 src1_sel:DWORD
	v_mul_u32_u24_sdwa v80, v48, s39 dst_sel:DWORD dst_unused:UNUSED_PAD src0_sel:WORD_0 src1_sel:DWORD
	v_mul_u32_u24_sdwa v48, v48, s39 dst_sel:DWORD dst_unused:UNUSED_PAD src0_sel:WORD_1 src1_sel:DWORD
	s_waitcnt lgkmcnt(0)
	v_pk_fma_f16 v30, v4, v65, v9
	v_pk_fma_f16 v31, v5, v65, v10
	;; [unrolled: 1-line block ×8, first 2 shown]
	ds_read_b128 v[8:11], v42 offset:192
	v_pk_fma_f16 v29, v6, v68, v30
	v_pk_fma_f16 v30, v7, v68, v31
	;; [unrolled: 1-line block ×4, first 2 shown]
	ds_read_b128 v[12:15], v42 offset:208
	v_pk_fma_f16 v53, v6, v70, v53
	v_pk_fma_f16 v54, v7, v70, v54
	;; [unrolled: 1-line block ×4, first 2 shown]
	ds_read2_b64 v[4:7], v46 offset0:128 offset1:160
	s_waitcnt lgkmcnt(2)
	v_mul_u32_u24_sdwa v55, v8, s39 dst_sel:DWORD dst_unused:UNUSED_PAD src0_sel:WORD_0 src1_sel:DWORD
	v_mul_u32_u24_sdwa v58, v8, s39 dst_sel:DWORD dst_unused:UNUSED_PAD src0_sel:WORD_1 src1_sel:DWORD
	v_mul_u32_u24_sdwa v59, v9, s39 dst_sel:DWORD dst_unused:UNUSED_PAD src0_sel:WORD_0 src1_sel:DWORD
	v_mul_u32_u24_sdwa v60, v9, s39 dst_sel:DWORD dst_unused:UNUSED_PAD src0_sel:WORD_1 src1_sel:DWORD
	;; [unrolled: 2-line block ×4, first 2 shown]
	s_waitcnt lgkmcnt(1)
	v_mul_u32_u24_sdwa v65, v12, s39 dst_sel:DWORD dst_unused:UNUSED_PAD src0_sel:WORD_0 src1_sel:DWORD
	v_mul_u32_u24_sdwa v66, v12, s39 dst_sel:DWORD dst_unused:UNUSED_PAD src0_sel:WORD_1 src1_sel:DWORD
	v_mul_u32_u24_sdwa v67, v13, s39 dst_sel:DWORD dst_unused:UNUSED_PAD src0_sel:WORD_0 src1_sel:DWORD
	v_mul_u32_u24_sdwa v68, v13, s39 dst_sel:DWORD dst_unused:UNUSED_PAD src0_sel:WORD_1 src1_sel:DWORD
	s_waitcnt lgkmcnt(0)
	v_pk_fma_f16 v8, v4, v72, v29
	v_pk_fma_f16 v9, v5, v72, v30
	;; [unrolled: 1-line block ×8, first 2 shown]
	v_mul_u32_u24_sdwa v69, v14, s39 dst_sel:DWORD dst_unused:UNUSED_PAD src0_sel:WORD_0 src1_sel:DWORD
	v_mul_u32_u24_sdwa v70, v14, s39 dst_sel:DWORD dst_unused:UNUSED_PAD src0_sel:WORD_1 src1_sel:DWORD
	v_mul_u32_u24_sdwa v71, v15, s39 dst_sel:DWORD dst_unused:UNUSED_PAD src0_sel:WORD_0 src1_sel:DWORD
	v_mul_u32_u24_sdwa v84, v15, s39 dst_sel:DWORD dst_unused:UNUSED_PAD src0_sel:WORD_1 src1_sel:DWORD
	v_pk_fma_f16 v8, v6, v76, v8
	v_pk_fma_f16 v9, v7, v76, v9
	;; [unrolled: 1-line block ×8, first 2 shown]
	ds_read2_b64 v[4:7], v46 offset0:192 offset1:224
	v_mul_u32_u24_sdwa v81, v49, s39 dst_sel:DWORD dst_unused:UNUSED_PAD src0_sel:WORD_0 src1_sel:DWORD
	v_mul_u32_u24_sdwa v49, v49, s39 dst_sel:DWORD dst_unused:UNUSED_PAD src0_sel:WORD_1 src1_sel:DWORD
	v_mul_u32_u24_sdwa v82, v50, s39 dst_sel:DWORD dst_unused:UNUSED_PAD src0_sel:WORD_0 src1_sel:DWORD
	v_mul_u32_u24_sdwa v50, v50, s39 dst_sel:DWORD dst_unused:UNUSED_PAD src0_sel:WORD_1 src1_sel:DWORD
	;; [unrolled: 2-line block ×3, first 2 shown]
	s_waitcnt lgkmcnt(0)
	v_pk_fma_f16 v29, v4, v80, v8
	v_pk_fma_f16 v30, v5, v80, v9
	;; [unrolled: 1-line block ×8, first 2 shown]
	ds_read_b128 v[8:11], v42 offset:224
	ds_read_b128 v[12:15], v42 offset:240
	v_pk_fma_f16 v29, v6, v82, v29
	v_pk_fma_f16 v30, v7, v82, v30
	;; [unrolled: 1-line block ×8, first 2 shown]
	ds_read2_b64 v[4:7], v47 offset1:32
	s_waitcnt lgkmcnt(2)
	v_mul_u32_u24_sdwa v52, v8, s39 dst_sel:DWORD dst_unused:UNUSED_PAD src0_sel:WORD_0 src1_sel:DWORD
	v_mul_u32_u24_sdwa v54, v8, s39 dst_sel:DWORD dst_unused:UNUSED_PAD src0_sel:WORD_1 src1_sel:DWORD
	v_mul_u32_u24_sdwa v56, v9, s39 dst_sel:DWORD dst_unused:UNUSED_PAD src0_sel:WORD_0 src1_sel:DWORD
	v_mul_u32_u24_sdwa v57, v9, s39 dst_sel:DWORD dst_unused:UNUSED_PAD src0_sel:WORD_1 src1_sel:DWORD
	;; [unrolled: 2-line block ×4, first 2 shown]
	s_waitcnt lgkmcnt(1)
	v_mul_u32_u24_sdwa v76, v12, s39 dst_sel:DWORD dst_unused:UNUSED_PAD src0_sel:WORD_0 src1_sel:DWORD
	v_mul_u32_u24_sdwa v77, v12, s39 dst_sel:DWORD dst_unused:UNUSED_PAD src0_sel:WORD_1 src1_sel:DWORD
	v_mul_u32_u24_sdwa v78, v13, s39 dst_sel:DWORD dst_unused:UNUSED_PAD src0_sel:WORD_0 src1_sel:DWORD
	v_mul_u32_u24_sdwa v79, v13, s39 dst_sel:DWORD dst_unused:UNUSED_PAD src0_sel:WORD_1 src1_sel:DWORD
	s_waitcnt lgkmcnt(0)
	v_pk_fma_f16 v8, v4, v55, v29
	v_pk_fma_f16 v9, v5, v55, v30
	;; [unrolled: 1-line block ×8, first 2 shown]
	v_mul_u32_u24_sdwa v80, v14, s39 dst_sel:DWORD dst_unused:UNUSED_PAD src0_sel:WORD_0 src1_sel:DWORD
	v_mul_u32_u24_sdwa v81, v14, s39 dst_sel:DWORD dst_unused:UNUSED_PAD src0_sel:WORD_1 src1_sel:DWORD
	v_mul_u32_u24_sdwa v82, v15, s39 dst_sel:DWORD dst_unused:UNUSED_PAD src0_sel:WORD_0 src1_sel:DWORD
	v_mul_u32_u24_sdwa v83, v15, s39 dst_sel:DWORD dst_unused:UNUSED_PAD src0_sel:WORD_1 src1_sel:DWORD
	v_pk_fma_f16 v8, v6, v61, v8
	v_pk_fma_f16 v9, v7, v61, v9
	;; [unrolled: 1-line block ×8, first 2 shown]
	ds_read2_b64 v[4:7], v47 offset0:64 offset1:96
	s_waitcnt lgkmcnt(0)
	v_pk_fma_f16 v29, v4, v65, v8
	v_pk_fma_f16 v30, v5, v65, v9
	;; [unrolled: 1-line block ×4, first 2 shown]
	ds_read2_b64 v[8:11], v47 offset0:128 offset1:160
	v_pk_fma_f16 v49, v4, v67, v12
	v_pk_fma_f16 v50, v5, v67, v13
	;; [unrolled: 1-line block ×4, first 2 shown]
	ds_read2_b64 v[12:15], v47 offset0:192 offset1:224
	s_waitcnt lgkmcnt(0)
	s_barrier
	s_load_dword s4, s[18:19], 0x4
	v_pk_fma_f16 v29, v6, v69, v29
	v_pk_fma_f16 v30, v7, v69, v30
	;; [unrolled: 1-line block ×16, first 2 shown]
	s_waitcnt lgkmcnt(0)
	s_lshl_b32 s4, s4, 5
	v_pk_fma_f16 v6, v10, v72, v6
	v_pk_fma_f16 v7, v11, v72, v7
	;; [unrolled: 1-line block ×8, first 2 shown]
	s_add_i32 s2, s4, s2
	v_pk_fma_f16 v6, v12, v76, v6
	v_pk_fma_f16 v9, v12, v77, v9
	;; [unrolled: 1-line block ×8, first 2 shown]
	s_cmp_ge_i32 s2, s34
	v_pk_fma_f16 v53, v14, v80, v6
	v_pk_fma_f16 v51, v14, v81, v9
	;; [unrolled: 1-line block ×8, first 2 shown]
	s_cbranch_scc0 .LBB9_17
.LBB9_18:
	v_cmp_lt_i32_e32 vcc, v37, v28
	s_cmp_lg_u64 s[20:21], 0
	s_cselect_b64 s[4:5], -1, 0
	v_cndmask_b32_e32 v4, v25, v37, vcc
	v_cmp_lt_i32_e32 vcc, v38, v28
	v_lshlrev_b32_e32 v7, 2, v4
	ds_bpermute_b32 v5, v7, v21
	v_cndmask_b32_e32 v4, v25, v38, vcc
	v_cmp_lt_i32_e32 vcc, v39, v28
	v_lshlrev_b32_e32 v11, 2, v4
	ds_bpermute_b32 v6, v7, v18
	v_cndmask_b32_e32 v4, v25, v39, vcc
	v_lshlrev_b32_e32 v12, 2, v4
	ds_bpermute_b32 v4, v7, v20
	ds_bpermute_b32 v7, v7, v19
	v_cmp_lt_i32_e32 vcc, v36, v28
	s_cmp_eq_u32 s3, 0
	s_cselect_b64 s[6:7], -1, 0
	s_waitcnt lgkmcnt(1)
	v_pk_add_f32 v[4:5], v[20:21], v[4:5]
	s_waitcnt lgkmcnt(0)
	v_pk_add_f32 v[6:7], v[18:19], v[6:7]
	ds_bpermute_b32 v8, v11, v4
	ds_bpermute_b32 v9, v11, v5
	;; [unrolled: 1-line block ×4, first 2 shown]
	v_cndmask_b32_e32 v13, v25, v36, vcc
	v_lshlrev_b32_e32 v13, 2, v13
	s_waitcnt lgkmcnt(2)
	v_pk_add_f32 v[4:5], v[4:5], v[8:9]
	ds_bpermute_b32 v8, v12, v4
	s_waitcnt lgkmcnt(1)
	v_pk_add_f32 v[6:7], v[6:7], v[10:11]
	ds_bpermute_b32 v9, v12, v5
	ds_bpermute_b32 v10, v12, v6
	;; [unrolled: 1-line block ×3, first 2 shown]
	v_cmp_lt_i32_e32 vcc, v35, v28
	s_and_b64 s[4:5], s[6:7], s[4:5]
	s_waitcnt lgkmcnt(2)
	v_pk_add_f32 v[4:5], v[4:5], v[8:9]
	ds_bpermute_b32 v8, v13, v4
	s_waitcnt lgkmcnt(1)
	v_pk_add_f32 v[6:7], v[6:7], v[10:11]
	ds_bpermute_b32 v9, v13, v5
	ds_bpermute_b32 v10, v13, v6
	;; [unrolled: 1-line block ×3, first 2 shown]
	v_cndmask_b32_e32 v12, v25, v35, vcc
	v_lshlrev_b32_e32 v13, 2, v12
	s_waitcnt lgkmcnt(2)
	v_pk_add_f32 v[4:5], v[4:5], v[8:9]
	ds_bpermute_b32 v8, v13, v4
	s_waitcnt lgkmcnt(1)
	v_pk_add_f32 v[10:11], v[6:7], v[10:11]
	ds_bpermute_b32 v9, v13, v5
	ds_bpermute_b32 v12, v13, v10
	;; [unrolled: 1-line block ×3, first 2 shown]
	s_and_b64 vcc, exec, s[4:5]
	s_waitcnt lgkmcnt(2)
	v_pk_add_f32 v[6:7], v[4:5], v[8:9]
	s_waitcnt lgkmcnt(0)
	v_pk_add_f32 v[4:5], v[10:11], v[12:13]
	s_cbranch_vccz .LBB9_20
; %bb.19:
	v_add_u32_e32 v8, s35, v32
	v_ashrrev_i32_e32 v9, 31, v8
	v_lshl_add_u64 v[8:9], v[8:9], 2, s[20:21]
	global_load_dwordx4 v[8:11], v[8:9], off
	v_max_f32_e32 v12, v0, v0
	v_max_f32_e32 v13, v1, v1
	s_mov_b32 s5, 0x3fb8aa3b
	v_max_f32_e32 v14, v2, v2
	s_mov_b32 s2, 0xc2ce8ed0
	s_mov_b32 s4, 0x42b17218
	v_mov_b32_e32 v18, 0x7f800000
	s_waitcnt vmcnt(0)
	v_max_f32_e32 v15, v8, v8
	v_max_f32_e32 v12, v12, v15
	;; [unrolled: 1-line block ×3, first 2 shown]
	v_sub_f32_e32 v0, v0, v12
	v_max_f32_e32 v13, v13, v19
	v_sub_f32_e32 v8, v8, v12
	v_mul_f32_e32 v15, 0x3fb8aa3b, v0
	v_max_f32_e32 v20, v10, v10
	v_sub_f32_e32 v1, v1, v13
	v_mul_f32_e32 v19, 0x3fb8aa3b, v8
	v_fma_f32 v24, v0, s5, -v15
	v_rndne_f32_e32 v25, v15
	v_max_f32_e32 v14, v14, v20
	v_sub_f32_e32 v9, v9, v13
	v_mul_f32_e32 v20, 0x3fb8aa3b, v1
	v_fma_f32 v26, v8, s5, -v19
	v_rndne_f32_e32 v27, v19
	v_fmac_f32_e32 v24, 0x32a5705f, v0
	v_sub_f32_e32 v15, v15, v25
	v_sub_f32_e32 v2, v2, v14
	v_mul_f32_e32 v21, 0x3fb8aa3b, v9
	v_fma_f32 v28, v1, s5, -v20
	v_rndne_f32_e32 v30, v20
	v_fmac_f32_e32 v26, 0x32a5705f, v8
	v_sub_f32_e32 v19, v19, v27
	v_add_f32_e32 v15, v15, v24
	v_mul_f32_e32 v22, 0x3fb8aa3b, v2
	v_fma_f32 v31, v9, s5, -v21
	v_rndne_f32_e32 v34, v21
	v_cvt_i32_f32_e32 v25, v25
	v_fmac_f32_e32 v28, 0x32a5705f, v1
	v_sub_f32_e32 v20, v20, v30
	v_add_f32_e32 v19, v19, v26
	v_exp_f32_e32 v15, v15
	v_fma_f32 v35, v2, s5, -v22
	v_rndne_f32_e32 v36, v22
	v_cvt_i32_f32_e32 v27, v27
	v_fmac_f32_e32 v31, 0x32a5705f, v9
	v_sub_f32_e32 v21, v21, v34
	v_add_f32_e32 v20, v20, v28
	v_exp_f32_e32 v19, v19
	v_cvt_i32_f32_e32 v30, v30
	v_fmac_f32_e32 v35, 0x32a5705f, v2
	v_sub_f32_e32 v22, v22, v36
	v_add_f32_e32 v21, v21, v31
	v_exp_f32_e32 v20, v20
	v_cvt_i32_f32_e32 v34, v34
	v_add_f32_e32 v22, v22, v35
	v_exp_f32_e32 v21, v21
	v_cvt_i32_f32_e32 v36, v36
	v_exp_f32_e32 v22, v22
	v_ldexp_f32 v15, v15, v25
	v_cmp_ngt_f32_e32 vcc, s2, v0
	v_ldexp_f32 v19, v19, v27
	v_ldexp_f32 v20, v20, v30
	v_cndmask_b32_e32 v15, 0, v15, vcc
	v_cmp_ngt_f32_e32 vcc, s2, v8
	v_sub_f32_e32 v10, v10, v14
	v_ldexp_f32 v21, v21, v34
	v_cndmask_b32_e32 v19, 0, v19, vcc
	v_cmp_ngt_f32_e32 vcc, s2, v1
	v_mul_f32_e32 v23, 0x3fb8aa3b, v10
	v_ldexp_f32 v22, v22, v36
	v_cndmask_b32_e32 v20, 0, v20, vcc
	v_cmp_ngt_f32_e32 vcc, s2, v9
	v_fma_f32 v37, v10, s5, -v23
	v_rndne_f32_e32 v38, v23
	v_cndmask_b32_e32 v21, 0, v21, vcc
	v_cmp_ngt_f32_e32 vcc, s2, v2
	v_fmac_f32_e32 v37, 0x32a5705f, v10
	v_sub_f32_e32 v23, v23, v38
	v_cndmask_b32_e32 v22, 0, v22, vcc
	v_cmp_nlt_f32_e32 vcc, s4, v0
	v_add_f32_e32 v23, v23, v37
	v_cvt_i32_f32_e32 v38, v38
	v_cndmask_b32_e32 v0, v18, v15, vcc
	v_cvt_f16_f32_e32 v15, v0
	v_exp_f32_e32 v23, v23
	v_cmp_nlt_f32_e32 vcc, s4, v8
	v_mul_u32_u24_e32 v15, 0x10001, v15
	s_nop 0
	v_cndmask_b32_e32 v8, v18, v19, vcc
	v_cmp_nlt_f32_e32 vcc, s4, v1
	v_pk_mul_f16 v53, v53, v15
	v_pk_mul_f16 v54, v54, v15
	v_cndmask_b32_e32 v1, v18, v20, vcc
	v_cmp_nlt_f32_e32 vcc, s4, v9
	v_ldexp_f32 v15, v23, v38
	v_max_f32_e32 v20, v3, v3
	v_cndmask_b32_e32 v9, v18, v21, vcc
	v_cmp_nlt_f32_e32 vcc, s4, v2
	v_cvt_f16_f32_e32 v19, v1
	v_pk_fma_f32 v[6:7], v[6:7], v[0:1], v[8:9]
	v_cndmask_b32_e32 v2, v18, v22, vcc
	v_cmp_ngt_f32_e32 vcc, s2, v10
	v_mul_u32_u24_e32 v19, 0x10001, v19
	v_pk_mul_f16 v51, v51, v19
	v_cndmask_b32_e32 v15, 0, v15, vcc
	v_cmp_nlt_f32_e32 vcc, s4, v10
	v_pk_mul_f16 v52, v52, v19
	v_cvt_f16_f32_e32 v19, v2
	v_cndmask_b32_e32 v10, v18, v15, vcc
	v_max_f32_e32 v15, v11, v11
	v_max_f32_e32 v15, v20, v15
	v_sub_f32_e32 v3, v3, v15
	v_mul_f32_e32 v20, 0x3fb8aa3b, v3
	v_fma_f32 v21, v3, s5, -v20
	v_rndne_f32_e32 v22, v20
	v_fmac_f32_e32 v21, 0x32a5705f, v3
	v_sub_f32_e32 v20, v20, v22
	v_add_f32_e32 v20, v20, v21
	v_exp_f32_e32 v20, v20
	v_cvt_i32_f32_e32 v21, v22
	v_mul_u32_u24_e32 v19, 0x10001, v19
	v_sub_f32_e32 v11, v11, v15
	v_pk_mul_f16 v49, v49, v19
	v_pk_mul_f16 v50, v50, v19
	v_ldexp_f32 v19, v20, v21
	v_mul_f32_e32 v20, 0x3fb8aa3b, v11
	v_fma_f32 v21, v11, s5, -v20
	v_rndne_f32_e32 v22, v20
	v_fmac_f32_e32 v21, 0x32a5705f, v11
	v_sub_f32_e32 v20, v20, v22
	v_add_f32_e32 v20, v20, v21
	v_exp_f32_e32 v20, v20
	v_cvt_i32_f32_e32 v21, v22
	v_cmp_ngt_f32_e32 vcc, s2, v3
	s_nop 1
	v_cndmask_b32_e32 v19, 0, v19, vcc
	v_cmp_nlt_f32_e32 vcc, s4, v3
	s_nop 1
	v_cndmask_b32_e32 v3, v18, v19, vcc
	v_ldexp_f32 v19, v20, v21
	v_cvt_f16_f32_e32 v20, v3
	v_cmp_ngt_f32_e32 vcc, s2, v11
	s_nop 1
	v_cndmask_b32_e32 v19, 0, v19, vcc
	v_cmp_nlt_f32_e32 vcc, s4, v11
	s_nop 1
	v_cndmask_b32_e32 v11, v18, v19, vcc
	v_mul_u32_u24_e32 v18, 0x10001, v20
	v_pk_fma_f32 v[4:5], v[4:5], v[2:3], v[10:11]
	v_mov_b64_e32 v[0:1], v[12:13]
	v_pk_mul_f16 v48, v48, v18
	v_pk_mul_f16 v29, v29, v18
	v_mov_b64_e32 v[2:3], v[14:15]
.LBB9_20:
	v_cmp_gt_i32_e32 vcc, s30, v17
	s_and_saveexec_b64 s[4:5], vcc
	s_cbranch_execz .LBB9_37
; %bb.21:
	s_load_dword s8, s[0:1], 0xd4
	v_mov_b32_e32 v10, 1.0
	s_waitcnt lgkmcnt(0)
	s_cmp_lg_u32 s8, 1
	s_cselect_b64 s[0:1], -1, 0
	s_cmp_eq_u32 s8, 1
	s_cselect_b64 s[6:7], -1, 0
	s_and_b64 vcc, exec, s[0:1]
	s_cbranch_vccnz .LBB9_23
; %bb.22:
	v_div_scale_f32 v8, s[4:5], v6, v6, 1.0
	v_rcp_f32_e32 v9, v8
	v_div_scale_f32 v10, vcc, 1.0, v6, 1.0
	v_fma_f32 v11, -v8, v9, 1.0
	v_fmac_f32_e32 v9, v11, v9
	v_mul_f32_e32 v11, v10, v9
	v_fma_f32 v12, -v8, v11, v10
	v_fmac_f32_e32 v11, v12, v9
	v_fma_f32 v8, -v8, v11, v10
	v_div_fmas_f32 v8, v8, v9, v11
	v_div_fixup_f32 v10, v8, v6, 1.0
.LBB9_23:
	s_mul_i32 s33, s33, s30
	v_add_u32_e32 v8, s33, v17
	v_mul_lo_u32 v8, v8, s31
	v_add3_u32 v8, s35, v32, v8
	v_cmp_eq_u32_e32 vcc, 0, v16
	v_cvt_f32_f16_sdwa v15, v53 dst_sel:DWORD dst_unused:UNUSED_PAD src0_sel:WORD_1
	v_cvt_f32_f16_e32 v14, v53
	v_cvt_f32_f16_sdwa v17, v54 dst_sel:DWORD dst_unused:UNUSED_PAD src0_sel:WORD_1
	v_cvt_f32_f16_e32 v16, v54
	v_mul_lo_u32 v8, s8, v8
	v_add_u32_e32 v8, s3, v8
	v_lshl_add_u32 v12, v8, 7, v33
	v_mov_b32_e32 v13, 0
	s_and_b64 s[4:5], vcc, s[0:1]
	v_lshl_add_u64 v[18:19], v[12:13], 2, s[24:25]
	v_pk_mul_f32 v[12:13], v[10:11], v[14:15] op_sel_hi:[0,1]
	v_pk_mul_f32 v[14:15], v[10:11], v[16:17] op_sel_hi:[0,1]
	global_store_dwordx4 v[18:19], v[12:15], off
	s_and_saveexec_b64 s[0:1], s[4:5]
	s_cbranch_execz .LBB9_25
; %bb.24:
	v_ashrrev_i32_e32 v9, 31, v8
	v_lshl_add_u64 v[10:11], v[8:9], 3, s[26:27]
	v_mov_b32_e32 v12, v0
	v_mov_b32_e32 v13, v6
	global_store_dwordx2 v[10:11], v[12:13], off
.LBB9_25:
	s_or_b64 exec, exec, s[0:1]
	v_cndmask_b32_e64 v0, 0, 1, s[6:7]
	v_cmp_ne_u32_e64 s[0:1], 1, v0
	s_andn2_b64 vcc, exec, s[6:7]
	v_mov_b32_e32 v0, 1.0
	s_cbranch_vccnz .LBB9_27
; %bb.26:
	v_div_scale_f32 v0, s[2:3], v7, v7, 1.0
	v_rcp_f32_e32 v6, v0
	v_div_scale_f32 v9, vcc, 1.0, v7, 1.0
	v_fma_f32 v10, -v0, v6, 1.0
	v_fmac_f32_e32 v6, v10, v6
	v_mul_f32_e32 v10, v9, v6
	v_fma_f32 v11, -v0, v10, v9
	v_fmac_f32_e32 v10, v11, v6
	v_fma_f32 v0, -v0, v10, v9
	v_div_fmas_f32 v0, v0, v6, v10
	v_div_fixup_f32 v0, v0, v7, 1.0
.LBB9_27:
	v_cvt_f32_f16_sdwa v13, v51 dst_sel:DWORD dst_unused:UNUSED_PAD src0_sel:WORD_1
	v_cvt_f32_f16_e32 v12, v51
	v_cvt_f32_f16_sdwa v15, v52 dst_sel:DWORD dst_unused:UNUSED_PAD src0_sel:WORD_1
	v_cvt_f32_f16_e32 v14, v52
	v_add_u32_e32 v8, s8, v8
	v_lshl_add_u32 v10, v8, 7, v33
	v_mov_b32_e32 v11, 0
	v_lshl_add_u64 v[16:17], v[10:11], 2, s[24:25]
	v_pk_mul_f32 v[10:11], v[0:1], v[12:13] op_sel_hi:[0,1]
	v_pk_mul_f32 v[12:13], v[0:1], v[14:15] op_sel_hi:[0,1]
	global_store_dwordx4 v[16:17], v[10:13], off
	s_and_saveexec_b64 s[2:3], s[4:5]
	s_cbranch_execz .LBB9_29
; %bb.28:
	v_ashrrev_i32_e32 v9, 31, v8
	v_lshl_add_u64 v[10:11], v[8:9], 3, s[26:27]
	v_mov_b32_e32 v6, v1
	global_store_dwordx2 v[10:11], v[6:7], off
.LBB9_29:
	s_or_b64 exec, exec, s[2:3]
	s_and_b64 vcc, exec, s[0:1]
	v_mov_b32_e32 v6, 1.0
	s_cbranch_vccnz .LBB9_31
; %bb.30:
	v_div_scale_f32 v0, s[2:3], v4, v4, 1.0
	v_rcp_f32_e32 v1, v0
	v_div_scale_f32 v6, vcc, 1.0, v4, 1.0
	v_fma_f32 v7, -v0, v1, 1.0
	v_fmac_f32_e32 v1, v7, v1
	v_mul_f32_e32 v7, v6, v1
	v_fma_f32 v9, -v0, v7, v6
	v_fmac_f32_e32 v7, v9, v1
	v_fma_f32 v0, -v0, v7, v6
	v_div_fmas_f32 v0, v0, v1, v7
	v_div_fixup_f32 v6, v0, v4, 1.0
.LBB9_31:
	v_cvt_f32_f16_sdwa v11, v49 dst_sel:DWORD dst_unused:UNUSED_PAD src0_sel:WORD_1
	v_cvt_f32_f16_e32 v10, v49
	v_cvt_f32_f16_sdwa v13, v50 dst_sel:DWORD dst_unused:UNUSED_PAD src0_sel:WORD_1
	v_cvt_f32_f16_e32 v12, v50
	v_add_u32_e32 v0, s8, v8
	v_lshl_add_u32 v8, v0, 7, v33
	v_mov_b32_e32 v9, 0
	v_lshl_add_u64 v[14:15], v[8:9], 2, s[24:25]
	v_pk_mul_f32 v[8:9], v[6:7], v[10:11] op_sel_hi:[0,1]
	v_pk_mul_f32 v[10:11], v[6:7], v[12:13] op_sel_hi:[0,1]
	global_store_dwordx4 v[14:15], v[8:11], off
	s_and_saveexec_b64 s[2:3], s[4:5]
	s_cbranch_execz .LBB9_33
; %bb.32:
	v_ashrrev_i32_e32 v1, 31, v0
	v_lshl_add_u64 v[6:7], v[0:1], 3, s[26:27]
	v_mov_b32_e32 v8, v2
	v_mov_b32_e32 v9, v4
	global_store_dwordx2 v[6:7], v[8:9], off
.LBB9_33:
	s_or_b64 exec, exec, s[2:3]
	s_and_b64 vcc, exec, s[0:1]
	v_mov_b32_e32 v2, 1.0
	s_cbranch_vccnz .LBB9_35
; %bb.34:
	v_div_scale_f32 v1, s[0:1], v5, v5, 1.0
	v_rcp_f32_e32 v2, v1
	v_div_scale_f32 v4, vcc, 1.0, v5, 1.0
	v_fma_f32 v6, -v1, v2, 1.0
	v_fmac_f32_e32 v2, v6, v2
	v_mul_f32_e32 v6, v4, v2
	v_fma_f32 v7, -v1, v6, v4
	v_fmac_f32_e32 v6, v7, v2
	v_fma_f32 v1, -v1, v6, v4
	v_div_fmas_f32 v1, v1, v2, v6
	v_div_fixup_f32 v2, v1, v5, 1.0
.LBB9_35:
	v_cvt_f32_f16_sdwa v9, v48 dst_sel:DWORD dst_unused:UNUSED_PAD src0_sel:WORD_1
	v_cvt_f32_f16_e32 v8, v48
	v_cvt_f32_f16_sdwa v11, v29 dst_sel:DWORD dst_unused:UNUSED_PAD src0_sel:WORD_1
	v_cvt_f32_f16_e32 v10, v29
	v_add_u32_e32 v0, s8, v0
	v_lshl_add_u32 v6, v0, 7, v33
	v_mov_b32_e32 v7, 0
	v_lshl_add_u64 v[12:13], v[6:7], 2, s[24:25]
	v_pk_mul_f32 v[6:7], v[2:3], v[8:9] op_sel_hi:[0,1]
	v_pk_mul_f32 v[8:9], v[2:3], v[10:11] op_sel_hi:[0,1]
	global_store_dwordx4 v[12:13], v[6:9], off
	s_and_b64 exec, exec, s[4:5]
	s_cbranch_execz .LBB9_37
; %bb.36:
	v_ashrrev_i32_e32 v1, 31, v0
	v_lshl_add_u64 v[0:1], v[0:1], 3, s[26:27]
	v_mov_b32_e32 v4, v3
	global_store_dwordx2 v[0:1], v[4:5], off
.LBB9_37:
	s_endpgm
	.section	.rodata,"a",@progbits
	.p2align	6, 0x0
	.amdhsa_kernel _ZL15flash_attn_tileILi192ELi128ELi4ELi8ELb0EEvPKcS1_S1_S1_S1_PKiPfP15HIP_vector_typeIfLj2EEffffjfiS5_IjLj3EEiiiiiiiiiiiliiliiiiil
		.amdhsa_group_segment_fixed_size 18944
		.amdhsa_private_segment_fixed_size 0
		.amdhsa_kernarg_size 464
		.amdhsa_user_sgpr_count 2
		.amdhsa_user_sgpr_dispatch_ptr 0
		.amdhsa_user_sgpr_queue_ptr 0
		.amdhsa_user_sgpr_kernarg_segment_ptr 1
		.amdhsa_user_sgpr_dispatch_id 0
		.amdhsa_user_sgpr_kernarg_preload_length 0
		.amdhsa_user_sgpr_kernarg_preload_offset 0
		.amdhsa_user_sgpr_private_segment_size 0
		.amdhsa_uses_dynamic_stack 0
		.amdhsa_enable_private_segment 0
		.amdhsa_system_sgpr_workgroup_id_x 1
		.amdhsa_system_sgpr_workgroup_id_y 1
		.amdhsa_system_sgpr_workgroup_id_z 1
		.amdhsa_system_sgpr_workgroup_info 0
		.amdhsa_system_vgpr_workitem_id 1
		.amdhsa_next_free_vgpr 85
		.amdhsa_next_free_sgpr 48
		.amdhsa_accum_offset 88
		.amdhsa_reserve_vcc 1
		.amdhsa_float_round_mode_32 0
		.amdhsa_float_round_mode_16_64 0
		.amdhsa_float_denorm_mode_32 3
		.amdhsa_float_denorm_mode_16_64 3
		.amdhsa_dx10_clamp 1
		.amdhsa_ieee_mode 1
		.amdhsa_fp16_overflow 0
		.amdhsa_tg_split 0
		.amdhsa_exception_fp_ieee_invalid_op 0
		.amdhsa_exception_fp_denorm_src 0
		.amdhsa_exception_fp_ieee_div_zero 0
		.amdhsa_exception_fp_ieee_overflow 0
		.amdhsa_exception_fp_ieee_underflow 0
		.amdhsa_exception_fp_ieee_inexact 0
		.amdhsa_exception_int_div_zero 0
	.end_amdhsa_kernel
	.section	.text._ZL15flash_attn_tileILi192ELi128ELi4ELi8ELb0EEvPKcS1_S1_S1_S1_PKiPfP15HIP_vector_typeIfLj2EEffffjfiS5_IjLj3EEiiiiiiiiiiiliiliiiiil,"axG",@progbits,_ZL15flash_attn_tileILi192ELi128ELi4ELi8ELb0EEvPKcS1_S1_S1_S1_PKiPfP15HIP_vector_typeIfLj2EEffffjfiS5_IjLj3EEiiiiiiiiiiiliiliiiiil,comdat
.Lfunc_end9:
	.size	_ZL15flash_attn_tileILi192ELi128ELi4ELi8ELb0EEvPKcS1_S1_S1_S1_PKiPfP15HIP_vector_typeIfLj2EEffffjfiS5_IjLj3EEiiiiiiiiiiiliiliiiiil, .Lfunc_end9-_ZL15flash_attn_tileILi192ELi128ELi4ELi8ELb0EEvPKcS1_S1_S1_S1_PKiPfP15HIP_vector_typeIfLj2EEffffjfiS5_IjLj3EEiiiiiiiiiiiliiliiiiil
                                        ; -- End function
	.set _ZL15flash_attn_tileILi192ELi128ELi4ELi8ELb0EEvPKcS1_S1_S1_S1_PKiPfP15HIP_vector_typeIfLj2EEffffjfiS5_IjLj3EEiiiiiiiiiiiliiliiiiil.num_vgpr, 85
	.set _ZL15flash_attn_tileILi192ELi128ELi4ELi8ELb0EEvPKcS1_S1_S1_S1_PKiPfP15HIP_vector_typeIfLj2EEffffjfiS5_IjLj3EEiiiiiiiiiiiliiliiiiil.num_agpr, 0
	.set _ZL15flash_attn_tileILi192ELi128ELi4ELi8ELb0EEvPKcS1_S1_S1_S1_PKiPfP15HIP_vector_typeIfLj2EEffffjfiS5_IjLj3EEiiiiiiiiiiiliiliiiiil.numbered_sgpr, 48
	.set _ZL15flash_attn_tileILi192ELi128ELi4ELi8ELb0EEvPKcS1_S1_S1_S1_PKiPfP15HIP_vector_typeIfLj2EEffffjfiS5_IjLj3EEiiiiiiiiiiiliiliiiiil.num_named_barrier, 0
	.set _ZL15flash_attn_tileILi192ELi128ELi4ELi8ELb0EEvPKcS1_S1_S1_S1_PKiPfP15HIP_vector_typeIfLj2EEffffjfiS5_IjLj3EEiiiiiiiiiiiliiliiiiil.private_seg_size, 0
	.set _ZL15flash_attn_tileILi192ELi128ELi4ELi8ELb0EEvPKcS1_S1_S1_S1_PKiPfP15HIP_vector_typeIfLj2EEffffjfiS5_IjLj3EEiiiiiiiiiiiliiliiiiil.uses_vcc, 1
	.set _ZL15flash_attn_tileILi192ELi128ELi4ELi8ELb0EEvPKcS1_S1_S1_S1_PKiPfP15HIP_vector_typeIfLj2EEffffjfiS5_IjLj3EEiiiiiiiiiiiliiliiiiil.uses_flat_scratch, 0
	.set _ZL15flash_attn_tileILi192ELi128ELi4ELi8ELb0EEvPKcS1_S1_S1_S1_PKiPfP15HIP_vector_typeIfLj2EEffffjfiS5_IjLj3EEiiiiiiiiiiiliiliiiiil.has_dyn_sized_stack, 0
	.set _ZL15flash_attn_tileILi192ELi128ELi4ELi8ELb0EEvPKcS1_S1_S1_S1_PKiPfP15HIP_vector_typeIfLj2EEffffjfiS5_IjLj3EEiiiiiiiiiiiliiliiiiil.has_recursion, 0
	.set _ZL15flash_attn_tileILi192ELi128ELi4ELi8ELb0EEvPKcS1_S1_S1_S1_PKiPfP15HIP_vector_typeIfLj2EEffffjfiS5_IjLj3EEiiiiiiiiiiiliiliiiiil.has_indirect_call, 0
	.section	.AMDGPU.csdata,"",@progbits
; Kernel info:
; codeLenInByte = 18360
; TotalNumSgprs: 54
; NumVgprs: 85
; NumAgprs: 0
; TotalNumVgprs: 85
; ScratchSize: 0
; MemoryBound: 0
; FloatMode: 240
; IeeeMode: 1
; LDSByteSize: 18944 bytes/workgroup (compile time only)
; SGPRBlocks: 6
; VGPRBlocks: 10
; NumSGPRsForWavesPerEU: 54
; NumVGPRsForWavesPerEU: 85
; AccumOffset: 88
; Occupancy: 5
; WaveLimiterHint : 1
; COMPUTE_PGM_RSRC2:SCRATCH_EN: 0
; COMPUTE_PGM_RSRC2:USER_SGPR: 2
; COMPUTE_PGM_RSRC2:TRAP_HANDLER: 0
; COMPUTE_PGM_RSRC2:TGID_X_EN: 1
; COMPUTE_PGM_RSRC2:TGID_Y_EN: 1
; COMPUTE_PGM_RSRC2:TGID_Z_EN: 1
; COMPUTE_PGM_RSRC2:TIDIG_COMP_CNT: 1
; COMPUTE_PGM_RSRC3_GFX90A:ACCUM_OFFSET: 21
; COMPUTE_PGM_RSRC3_GFX90A:TG_SPLIT: 0
	.section	.text._ZL25flash_attn_mask_to_KV_maxILi4EEvPK7__half2Piiii,"axG",@progbits,_ZL25flash_attn_mask_to_KV_maxILi4EEvPK7__half2Piiii,comdat
	.globl	_ZL25flash_attn_mask_to_KV_maxILi4EEvPK7__half2Piiii ; -- Begin function _ZL25flash_attn_mask_to_KV_maxILi4EEvPK7__half2Piiii
	.p2align	8
	.type	_ZL25flash_attn_mask_to_KV_maxILi4EEvPK7__half2Piiii,@function
_ZL25flash_attn_mask_to_KV_maxILi4EEvPK7__half2Piiii: ; @_ZL25flash_attn_mask_to_KV_maxILi4EEvPK7__half2Piiii
; %bb.0:
	s_load_dwordx4 s[4:7], s[0:1], 0x0
	v_cmp_gt_u32_e32 vcc, 32, v0
	s_and_saveexec_b64 s[8:9], vcc
; %bb.1:
	v_lshlrev_b32_e32 v1, 2, v0
	v_mov_b32_e32 v2, 1
	ds_write_b32 v1, v2
; %bb.2:
	s_or_b64 exec, exec, s[8:9]
	s_load_dwordx4 s[8:11], s[0:1], 0x10
	s_load_dword s24, s[0:1], 0x20
	v_and_b32_e32 v2, 31, v0
	v_lshlrev_b32_e32 v6, 2, v2
	v_lshrrev_b32_e32 v1, 3, v0
	s_waitcnt lgkmcnt(0)
	s_mul_i32 s1, s2, s9
	s_mul_i32 s0, s10, s3
	s_lshl_b32 s1, s1, 2
	s_add_i32 s0, s0, s1
	s_ashr_i32 s1, s0, 31
	s_lshl_b64 s[0:1], s[0:1], 2
	s_add_u32 s10, s4, s0
	s_addc_u32 s11, s5, s1
	v_cmp_eq_u32_e64 s[0:1], 0, v2
	v_mbcnt_lo_u32_b32 v2, -1, 0
	v_mbcnt_hi_u32_b32 v7, -1, v2
	v_and_b32_e32 v2, 0x60, v7
	s_lshl_b32 s8, s8, 8
	s_mov_b64 s[12:13], 0
	v_mov_b32_e32 v3, 0
	s_movk_i32 s25, 0x204
	v_add_u32_e32 v8, 32, v2
	v_xor_b32_e32 v9, 16, v7
	v_xor_b32_e32 v10, 8, v7
	v_xor_b32_e32 v11, 4, v7
	v_xor_b32_e32 v12, 2, v7
	v_xor_b32_e32 v13, 1, v7
	s_barrier
                                        ; implicit-def: $sgpr4_sgpr5
	s_branch .LBB10_5
.LBB10_3:                               ;   in Loop: Header=BB10_5 Depth=1
	s_or_b64 exec, exec, s[14:15]
	s_waitcnt lgkmcnt(0)
	s_barrier
	ds_read_b32 v16, v6
	s_waitcnt lgkmcnt(0)
	s_barrier
	ds_bpermute_b32 v2, v2, v16
	v_cmp_ne_u32_e32 vcc, 0, v16
	s_waitcnt lgkmcnt(0)
	v_cmp_ne_u32_e64 s[4:5], 0, v2
	s_and_b64 s[4:5], vcc, s[4:5]
	s_nop 0
	v_cndmask_b32_e64 v2, 0, 1, s[4:5]
	ds_bpermute_b32 v2, v4, v2
	s_waitcnt lgkmcnt(0)
	v_cmp_ne_u32_e32 vcc, 0, v2
	s_and_b64 s[4:5], vcc, s[4:5]
	v_cndmask_b32_e64 v2, 0, 1, s[4:5]
	ds_bpermute_b32 v2, v5, v2
	s_waitcnt lgkmcnt(0)
	v_cmp_ne_u32_e32 vcc, 0, v2
	s_and_b64 s[4:5], vcc, s[4:5]
	;; [unrolled: 5-line block ×3, first 2 shown]
	v_cndmask_b32_e64 v2, 0, 1, s[4:5]
	ds_bpermute_b32 v2, v15, v2
	s_xor_b64 s[4:5], s[4:5], -1
	s_waitcnt lgkmcnt(0)
	v_cmp_eq_u32_e32 vcc, 0, v2
	s_or_b64 s[4:5], vcc, s[4:5]
.LBB10_4:                               ;   in Loop: Header=BB10_5 Depth=1
	s_and_b64 s[14:15], exec, s[4:5]
	s_or_b64 s[12:13], s[14:15], s[12:13]
	v_mov_b32_e32 v2, s8
	s_mov_b32 s8, s26
	s_andn2_b64 exec, exec, s[12:13]
	s_cbranch_execz .LBB10_20
.LBB10_5:                               ; =>This Inner Loop Header: Depth=1
	s_add_i32 s26, s8, 0xffffff00
	s_or_b64 s[4:5], s[4:5], exec
	s_cmp_lt_i32 s26, 0
	s_cbranch_scc1 .LBB10_4
; %bb.6:                                ;   in Loop: Header=BB10_5 Depth=1
	s_lshr_b32 s4, s26, 1
	v_add_u32_e32 v2, s4, v0
	v_lshl_add_u64 v[4:5], v[2:3], 2, s[10:11]
	global_load_dword v4, v[4:5], off
	v_mov_b32_e32 v5, 0
	s_waitcnt vmcnt(0)
	v_cmp_class_f16_e64 s[4:5], v4, s25
	v_cmp_class_f16_sdwa s[14:15], v4, s25 src0_sel:WORD_1 src1_sel:DWORD
	s_and_b64 s[14:15], s[4:5], s[14:15]
	s_and_saveexec_b64 s[4:5], s[14:15]
	s_cbranch_execz .LBB10_18
; %bb.7:                                ;   in Loop: Header=BB10_5 Depth=1
	v_add_u32_e32 v4, s9, v2
	v_ashrrev_i32_e32 v5, 31, v4
	v_lshl_add_u64 v[14:15], v[4:5], 2, s[10:11]
	global_load_dword v2, v[14:15], off
	v_mov_b32_e32 v5, 0
	s_waitcnt vmcnt(0)
	v_cmp_class_f16_e64 s[16:17], v2, s25
	s_and_saveexec_b64 s[14:15], s[16:17]
	s_cbranch_execz .LBB10_17
; %bb.8:                                ;   in Loop: Header=BB10_5 Depth=1
	v_cmp_class_f16_sdwa s[18:19], v2, s25 src0_sel:WORD_1 src1_sel:DWORD
	v_mov_b32_e32 v5, 0
	s_and_saveexec_b64 s[16:17], s[18:19]
	s_cbranch_execz .LBB10_16
; %bb.9:                                ;   in Loop: Header=BB10_5 Depth=1
	v_add_u32_e32 v4, s9, v4
	v_ashrrev_i32_e32 v5, 31, v4
	v_lshl_add_u64 v[14:15], v[4:5], 2, s[10:11]
	global_load_dword v2, v[14:15], off
	v_mov_b32_e32 v5, 0
	s_waitcnt vmcnt(0)
	v_cmp_class_f16_e64 s[20:21], v2, s25
	s_and_saveexec_b64 s[18:19], s[20:21]
	s_cbranch_execz .LBB10_15
; %bb.10:                               ;   in Loop: Header=BB10_5 Depth=1
	v_cmp_class_f16_sdwa s[22:23], v2, s25 src0_sel:WORD_1 src1_sel:DWORD
	v_mov_b32_e32 v5, 0
	s_and_saveexec_b64 s[20:21], s[22:23]
	s_cbranch_execz .LBB10_14
; %bb.11:                               ;   in Loop: Header=BB10_5 Depth=1
	v_add_u32_e32 v4, s9, v4
	v_ashrrev_i32_e32 v5, 31, v4
	v_lshl_add_u64 v[4:5], v[4:5], 2, s[10:11]
	global_load_dword v2, v[4:5], off
	v_mov_b32_e32 v5, 0
	s_waitcnt vmcnt(0)
	v_cmp_class_f16_e64 s[28:29], v2, s25
	s_and_saveexec_b64 s[22:23], s[28:29]
; %bb.12:                               ;   in Loop: Header=BB10_5 Depth=1
	v_cmp_class_f16_sdwa s[28:29], v2, s25 src0_sel:WORD_1 src1_sel:DWORD
	s_nop 1
	v_cndmask_b32_e64 v5, 0, 1, s[28:29]
; %bb.13:                               ;   in Loop: Header=BB10_5 Depth=1
	s_or_b64 exec, exec, s[22:23]
.LBB10_14:                              ;   in Loop: Header=BB10_5 Depth=1
	s_or_b64 exec, exec, s[20:21]
.LBB10_15:                              ;   in Loop: Header=BB10_5 Depth=1
	s_or_b64 exec, exec, s[18:19]
.LBB10_16:                              ;   in Loop: Header=BB10_5 Depth=1
	s_or_b64 exec, exec, s[16:17]
.LBB10_17:                              ;   in Loop: Header=BB10_5 Depth=1
	s_or_b64 exec, exec, s[14:15]
.LBB10_18:                              ;   in Loop: Header=BB10_5 Depth=1
	s_or_b64 exec, exec, s[4:5]
	v_cmp_lt_i32_e32 vcc, v9, v8
	s_nop 1
	v_cndmask_b32_e32 v2, v7, v9, vcc
	v_lshlrev_b32_e32 v2, 2, v2
	ds_bpermute_b32 v4, v2, v5
	v_cmp_ne_u32_e32 vcc, 0, v5
	s_waitcnt lgkmcnt(0)
	v_cmp_ne_u32_e64 s[4:5], 0, v4
	s_and_b64 s[4:5], vcc, s[4:5]
	v_cmp_lt_i32_e32 vcc, v10, v8
	v_cndmask_b32_e64 v5, 0, 1, s[4:5]
	s_nop 0
	v_cndmask_b32_e32 v4, v7, v10, vcc
	v_lshlrev_b32_e32 v4, 2, v4
	ds_bpermute_b32 v5, v4, v5
	s_waitcnt lgkmcnt(0)
	v_cmp_ne_u32_e32 vcc, 0, v5
	s_and_b64 s[4:5], vcc, s[4:5]
	v_cmp_lt_i32_e32 vcc, v11, v8
	v_cndmask_b32_e64 v14, 0, 1, s[4:5]
	s_nop 0
	v_cndmask_b32_e32 v5, v7, v11, vcc
	v_lshlrev_b32_e32 v5, 2, v5
	ds_bpermute_b32 v14, v5, v14
	s_waitcnt lgkmcnt(0)
	v_cmp_ne_u32_e32 vcc, 0, v14
	;; [unrolled: 9-line block ×3, first 2 shown]
	s_and_b64 s[4:5], vcc, s[4:5]
	v_cmp_lt_i32_e32 vcc, v13, v8
	v_cndmask_b32_e64 v16, 0, 1, s[4:5]
	s_nop 0
	v_cndmask_b32_e32 v15, v7, v13, vcc
	v_lshlrev_b32_e32 v15, 2, v15
	ds_bpermute_b32 v16, v15, v16
	s_and_saveexec_b64 s[14:15], s[0:1]
	s_cbranch_execz .LBB10_3
; %bb.19:                               ;   in Loop: Header=BB10_5 Depth=1
	s_waitcnt lgkmcnt(0)
	v_cmp_ne_u32_e32 vcc, 0, v16
	s_and_b64 s[4:5], vcc, s[4:5]
	v_cndmask_b32_e64 v16, 0, 1, s[4:5]
	ds_write_b32 v1, v16
	s_branch .LBB10_3
.LBB10_20:
	s_or_b64 exec, exec, s[12:13]
	v_cmp_eq_u32_e32 vcc, 0, v0
	s_and_saveexec_b64 s[0:1], vcc
	s_cbranch_execz .LBB10_22
; %bb.21:
	s_mul_i32 s0, s24, s3
	s_add_i32 s0, s0, s2
	s_ashr_i32 s1, s0, 31
	s_lshl_b64 s[0:1], s[0:1], 2
	s_add_u32 s0, s6, s0
	s_addc_u32 s1, s7, s1
	v_mov_b32_e32 v0, 0
	global_store_dword v0, v2, s[0:1]
.LBB10_22:
	s_endpgm
	.section	.rodata,"a",@progbits
	.p2align	6, 0x0
	.amdhsa_kernel _ZL25flash_attn_mask_to_KV_maxILi4EEvPK7__half2Piiii
		.amdhsa_group_segment_fixed_size 128
		.amdhsa_private_segment_fixed_size 0
		.amdhsa_kernarg_size 288
		.amdhsa_user_sgpr_count 2
		.amdhsa_user_sgpr_dispatch_ptr 0
		.amdhsa_user_sgpr_queue_ptr 0
		.amdhsa_user_sgpr_kernarg_segment_ptr 1
		.amdhsa_user_sgpr_dispatch_id 0
		.amdhsa_user_sgpr_kernarg_preload_length 0
		.amdhsa_user_sgpr_kernarg_preload_offset 0
		.amdhsa_user_sgpr_private_segment_size 0
		.amdhsa_uses_dynamic_stack 0
		.amdhsa_enable_private_segment 0
		.amdhsa_system_sgpr_workgroup_id_x 1
		.amdhsa_system_sgpr_workgroup_id_y 1
		.amdhsa_system_sgpr_workgroup_id_z 0
		.amdhsa_system_sgpr_workgroup_info 0
		.amdhsa_system_vgpr_workitem_id 0
		.amdhsa_next_free_vgpr 17
		.amdhsa_next_free_sgpr 30
		.amdhsa_accum_offset 20
		.amdhsa_reserve_vcc 1
		.amdhsa_float_round_mode_32 0
		.amdhsa_float_round_mode_16_64 0
		.amdhsa_float_denorm_mode_32 3
		.amdhsa_float_denorm_mode_16_64 3
		.amdhsa_dx10_clamp 1
		.amdhsa_ieee_mode 1
		.amdhsa_fp16_overflow 0
		.amdhsa_tg_split 0
		.amdhsa_exception_fp_ieee_invalid_op 0
		.amdhsa_exception_fp_denorm_src 0
		.amdhsa_exception_fp_ieee_div_zero 0
		.amdhsa_exception_fp_ieee_overflow 0
		.amdhsa_exception_fp_ieee_underflow 0
		.amdhsa_exception_fp_ieee_inexact 0
		.amdhsa_exception_int_div_zero 0
	.end_amdhsa_kernel
	.section	.text._ZL25flash_attn_mask_to_KV_maxILi4EEvPK7__half2Piiii,"axG",@progbits,_ZL25flash_attn_mask_to_KV_maxILi4EEvPK7__half2Piiii,comdat
.Lfunc_end10:
	.size	_ZL25flash_attn_mask_to_KV_maxILi4EEvPK7__half2Piiii, .Lfunc_end10-_ZL25flash_attn_mask_to_KV_maxILi4EEvPK7__half2Piiii
                                        ; -- End function
	.set _ZL25flash_attn_mask_to_KV_maxILi4EEvPK7__half2Piiii.num_vgpr, 17
	.set _ZL25flash_attn_mask_to_KV_maxILi4EEvPK7__half2Piiii.num_agpr, 0
	.set _ZL25flash_attn_mask_to_KV_maxILi4EEvPK7__half2Piiii.numbered_sgpr, 30
	.set _ZL25flash_attn_mask_to_KV_maxILi4EEvPK7__half2Piiii.num_named_barrier, 0
	.set _ZL25flash_attn_mask_to_KV_maxILi4EEvPK7__half2Piiii.private_seg_size, 0
	.set _ZL25flash_attn_mask_to_KV_maxILi4EEvPK7__half2Piiii.uses_vcc, 1
	.set _ZL25flash_attn_mask_to_KV_maxILi4EEvPK7__half2Piiii.uses_flat_scratch, 0
	.set _ZL25flash_attn_mask_to_KV_maxILi4EEvPK7__half2Piiii.has_dyn_sized_stack, 0
	.set _ZL25flash_attn_mask_to_KV_maxILi4EEvPK7__half2Piiii.has_recursion, 0
	.set _ZL25flash_attn_mask_to_KV_maxILi4EEvPK7__half2Piiii.has_indirect_call, 0
	.section	.AMDGPU.csdata,"",@progbits
; Kernel info:
; codeLenInByte = 988
; TotalNumSgprs: 36
; NumVgprs: 17
; NumAgprs: 0
; TotalNumVgprs: 17
; ScratchSize: 0
; MemoryBound: 0
; FloatMode: 240
; IeeeMode: 1
; LDSByteSize: 128 bytes/workgroup (compile time only)
; SGPRBlocks: 4
; VGPRBlocks: 2
; NumSGPRsForWavesPerEU: 36
; NumVGPRsForWavesPerEU: 17
; AccumOffset: 20
; Occupancy: 8
; WaveLimiterHint : 0
; COMPUTE_PGM_RSRC2:SCRATCH_EN: 0
; COMPUTE_PGM_RSRC2:USER_SGPR: 2
; COMPUTE_PGM_RSRC2:TRAP_HANDLER: 0
; COMPUTE_PGM_RSRC2:TGID_X_EN: 1
; COMPUTE_PGM_RSRC2:TGID_Y_EN: 1
; COMPUTE_PGM_RSRC2:TGID_Z_EN: 0
; COMPUTE_PGM_RSRC2:TIDIG_COMP_CNT: 0
; COMPUTE_PGM_RSRC3_GFX90A:ACCUM_OFFSET: 4
; COMPUTE_PGM_RSRC3_GFX90A:TG_SPLIT: 0
	.section	.text._ZL33flash_attn_stream_k_fixup_uniformILi128ELi4ELi8EEvPfPK15HIP_vector_typeIfLj2EEiiiiiiS1_IjLj3EES5_S5_,"axG",@progbits,_ZL33flash_attn_stream_k_fixup_uniformILi128ELi4ELi8EEvPfPK15HIP_vector_typeIfLj2EEiiiiiiS1_IjLj3EES5_S5_,comdat
	.globl	_ZL33flash_attn_stream_k_fixup_uniformILi128ELi4ELi8EEvPfPK15HIP_vector_typeIfLj2EEiiiiiiS1_IjLj3EES5_S5_ ; -- Begin function _ZL33flash_attn_stream_k_fixup_uniformILi128ELi4ELi8EEvPfPK15HIP_vector_typeIfLj2EEiiiiiiS1_IjLj3EES5_S5_
	.p2align	8
	.type	_ZL33flash_attn_stream_k_fixup_uniformILi128ELi4ELi8EEvPfPK15HIP_vector_typeIfLj2EEiiiiiiS1_IjLj3EES5_S5_,@function
_ZL33flash_attn_stream_k_fixup_uniformILi128ELi4ELi8EEvPfPK15HIP_vector_typeIfLj2EEiiiiiiS1_IjLj3EES5_S5_: ; @_ZL33flash_attn_stream_k_fixup_uniformILi128ELi4ELi8EEvPfPK15HIP_vector_typeIfLj2EEiiiiiiS1_IjLj3EES5_S5_
; %bb.0:
	s_load_dwordx8 s[8:15], s[0:1], 0x1c
	s_load_dwordx2 s[6:7], s[0:1], 0x10
	s_load_dwordx4 s[20:23], s[0:1], 0x3c
	s_waitcnt lgkmcnt(0)
	s_mul_hi_u32 s5, s11, s2
	s_add_i32 s5, s2, s5
	s_lshr_b32 s5, s5, s12
	s_mul_i32 s11, s5, s13
	s_sub_i32 s11, s2, s11
	s_mul_hi_u32 s12, s11, s14
	s_add_i32 s12, s11, s12
	s_lshr_b32 s16, s12, s15
	s_mul_i32 s12, s16, s20
	s_sub_i32 s11, s11, s12
	;; [unrolled: 5-line block ×3, first 2 shown]
	s_lshl_b32 s11, s12, 3
	s_lshl_b32 s12, s17, 2
	s_add_i32 s12, s12, s3
	s_cmp_lt_i32 s12, s6
	s_cselect_b64 s[12:13], -1, 0
	s_add_i32 s14, s11, s4
	s_cmp_lt_i32 s14, s9
	s_cselect_b64 s[14:15], -1, 0
	s_and_b64 s[12:13], s[12:13], s[14:15]
	s_andn2_b64 vcc, exec, s[12:13]
	s_cbranch_vccnz .LBB11_6
; %bb.1:
	s_load_dwordx4 s[12:15], s[0:1], 0x0
	s_mul_i32 s0, s5, s6
	s_add_i32 s0, s0, s3
	s_mul_i32 s0, s0, s7
	s_mul_i32 s16, s16, s9
	s_add_i32 s0, s0, s4
	s_add_i32 s0, s0, s16
	s_mul_i32 s1, s7, s17
	s_add_i32 s0, s0, s11
	s_lshl_b32 s1, s1, 9
	s_lshl_b32 s0, s0, 7
	s_add_i32 s1, s1, s0
	v_or_b32_e32 v4, s1, v0
	s_waitcnt lgkmcnt(0)
	v_mov_b32_e32 v2, s12
	v_mov_b32_e32 v3, s13
	v_ashrrev_i32_e32 v5, 31, v4
	v_lshl_add_u64 v[2:3], v[4:5], 2, v[2:3]
	global_load_dword v5, v[2:3], off
	s_mul_i32 s5, s10, s2
	s_lshl_b32 s11, s3, 3
	s_add_i32 s9, s5, s10
	s_add_i32 s0, s11, s4
	s_lshl_b32 s1, s9, 5
	s_add_i32 s0, s0, s1
	s_sub_i32 s0, s0, 32
	s_ashr_i32 s1, s0, 31
	s_lshl_b64 s[0:1], s[0:1], 3
	s_add_u32 s0, s14, s0
	s_addc_u32 s1, s15, s1
	s_load_dword s12, s[0:1], 0x4
	s_add_i32 s6, s9, -2
	s_cmp_lt_i32 s6, s5
	s_cbranch_scc1 .LBB11_4
; %bb.2:
	s_lshl_b32 s6, s8, 7
	s_ashr_i32 s7, s6, 31
	s_lshl_b64 s[6:7], s[6:7], 2
	s_add_u32 s6, s14, s6
	s_addc_u32 s7, s15, s7
	s_add_i32 s2, s2, 1
	s_load_dword s0, s[0:1], 0x0
	s_mul_i32 s1, s10, s2
	s_lshl_b32 s3, s3, 10
	s_lshl_b32 s10, s4, 7
	;; [unrolled: 1-line block ×3, first 2 shown]
	s_add_i32 s3, s10, s3
	s_lshl_b32 s1, s1, 5
	s_add_i32 s3, s3, s2
	s_add_i32 s1, s4, s1
	s_lshl_b32 s2, s8, 5
	s_add_i32 s1, s1, s2
	v_or_b32_e32 v0, s3, v0
	s_add_i32 s1, s1, s11
	s_add_i32 s9, s9, -1
	v_add_u32_e32 v0, 0xffffe000, v0
	s_sub_i32 s2, s1, 64
	s_waitcnt lgkmcnt(0)
	v_mov_b32_e32 v7, s0
	v_mov_b32_e32 v4, s12
	s_mov_b32 s4, 0x3fb8aa3b
	s_mov_b32 s8, 0xc2ce8ed0
	;; [unrolled: 1-line block ×3, first 2 shown]
	v_mov_b32_e32 v6, 0x7f800000
	s_mov_b32 s11, 0xc1a00000
.LBB11_3:                               ; =>This Inner Loop Header: Depth=1
	v_ashrrev_i32_e32 v1, 31, v0
	v_lshl_add_u64 v[8:9], v[0:1], 2, s[6:7]
	global_load_dword v9, v[8:9], off
	s_ashr_i32 s3, s2, 31
	s_lshl_b64 s[0:1], s[2:3], 3
	s_add_u32 s0, s14, s0
	s_addc_u32 s1, s15, s1
	s_load_dwordx2 s[0:1], s[0:1], 0x0
	v_max_f32_e32 v1, v7, v7
	s_add_i32 s9, s9, -1
	s_sub_i32 s2, s2, 32
	v_add_u32_e32 v0, 0xfffff000, v0
	s_waitcnt lgkmcnt(0)
	v_max_f32_e64 v10, s0, s0
	v_max_f32_e32 v1, v1, v10
	v_sub_f32_e32 v11, s0, v1
	v_sub_f32_e32 v10, v7, v1
	v_mul_f32_e32 v12, 0x3fb8aa3b, v11
	v_mov_b32_e32 v7, v1
	v_mul_f32_e32 v1, 0x3fb8aa3b, v10
	v_fma_f32 v15, v11, s4, -v12
	v_rndne_f32_e32 v16, v12
	v_fma_f32 v13, v10, s4, -v1
	v_rndne_f32_e32 v14, v1
	v_fmac_f32_e32 v15, 0x32a5705f, v11
	v_sub_f32_e32 v12, v12, v16
	v_fmac_f32_e32 v13, 0x32a5705f, v10
	v_sub_f32_e32 v1, v1, v14
	v_add_f32_e32 v12, v12, v15
	v_cvt_i32_f32_e32 v16, v16
	v_add_f32_e32 v1, v1, v13
	v_exp_f32_e32 v12, v12
	v_cvt_i32_f32_e32 v14, v14
	v_exp_f32_e32 v1, v1
	v_cmp_ngt_f32_e32 vcc, s8, v11
	v_ldexp_f32 v12, v12, v16
	v_mov_b32_e32 v8, s1
	v_ldexp_f32 v1, v1, v14
	v_cmp_ngt_f32_e64 s[0:1], s8, v10
	v_cndmask_b32_e32 v12, 0, v12, vcc
	v_cmp_nlt_f32_e32 vcc, s10, v11
	v_cndmask_b32_e64 v1, 0, v1, s[0:1]
	v_cmp_nlt_f32_e64 s[0:1], s10, v10
	v_cndmask_b32_e32 v12, v6, v12, vcc
	v_cmp_le_f32_e32 vcc, s11, v11
	v_cndmask_b32_e64 v1, v6, v1, s[0:1]
	v_cmp_le_f32_e64 s[0:1], s11, v10
	v_cndmask_b32_e32 v12, 0, v12, vcc
	s_cmp_le_i32 s9, s5
	v_cndmask_b32_e64 v10, 0, v1, s[0:1]
	s_waitcnt vmcnt(0)
	v_pk_mul_f32 v[8:9], v[8:9], v[12:13] op_sel_hi:[1,0]
	s_nop 0
	v_pk_fma_f32 v[4:5], v[4:5], v[10:11], v[8:9] op_sel_hi:[1,0,1]
	s_cbranch_scc0 .LBB11_3
	s_branch .LBB11_5
.LBB11_4:
	s_waitcnt lgkmcnt(0)
	v_mov_b32_e32 v4, s12
.LBB11_5:
	s_waitcnt vmcnt(0)
	v_div_scale_f32 v0, s[0:1], v4, v4, v5
	v_rcp_f32_e32 v1, v0
	v_div_scale_f32 v6, vcc, v5, v4, v5
	v_fma_f32 v7, -v0, v1, 1.0
	v_fmac_f32_e32 v1, v7, v1
	v_mul_f32_e32 v7, v6, v1
	v_fma_f32 v8, -v0, v7, v6
	v_fmac_f32_e32 v7, v8, v1
	v_fma_f32 v0, -v0, v7, v6
	v_div_fmas_f32 v0, v0, v1, v7
	v_div_fixup_f32 v0, v0, v4, v5
	global_store_dword v[2:3], v0, off
.LBB11_6:
	s_endpgm
	.section	.rodata,"a",@progbits
	.p2align	6, 0x0
	.amdhsa_kernel _ZL33flash_attn_stream_k_fixup_uniformILi128ELi4ELi8EEvPfPK15HIP_vector_typeIfLj2EEiiiiiiS1_IjLj3EES5_S5_
		.amdhsa_group_segment_fixed_size 0
		.amdhsa_private_segment_fixed_size 0
		.amdhsa_kernarg_size 76
		.amdhsa_user_sgpr_count 2
		.amdhsa_user_sgpr_dispatch_ptr 0
		.amdhsa_user_sgpr_queue_ptr 0
		.amdhsa_user_sgpr_kernarg_segment_ptr 1
		.amdhsa_user_sgpr_dispatch_id 0
		.amdhsa_user_sgpr_kernarg_preload_length 0
		.amdhsa_user_sgpr_kernarg_preload_offset 0
		.amdhsa_user_sgpr_private_segment_size 0
		.amdhsa_uses_dynamic_stack 0
		.amdhsa_enable_private_segment 0
		.amdhsa_system_sgpr_workgroup_id_x 1
		.amdhsa_system_sgpr_workgroup_id_y 1
		.amdhsa_system_sgpr_workgroup_id_z 1
		.amdhsa_system_sgpr_workgroup_info 0
		.amdhsa_system_vgpr_workitem_id 0
		.amdhsa_next_free_vgpr 17
		.amdhsa_next_free_sgpr 24
		.amdhsa_accum_offset 20
		.amdhsa_reserve_vcc 1
		.amdhsa_float_round_mode_32 0
		.amdhsa_float_round_mode_16_64 0
		.amdhsa_float_denorm_mode_32 3
		.amdhsa_float_denorm_mode_16_64 3
		.amdhsa_dx10_clamp 1
		.amdhsa_ieee_mode 1
		.amdhsa_fp16_overflow 0
		.amdhsa_tg_split 0
		.amdhsa_exception_fp_ieee_invalid_op 0
		.amdhsa_exception_fp_denorm_src 0
		.amdhsa_exception_fp_ieee_div_zero 0
		.amdhsa_exception_fp_ieee_overflow 0
		.amdhsa_exception_fp_ieee_underflow 0
		.amdhsa_exception_fp_ieee_inexact 0
		.amdhsa_exception_int_div_zero 0
	.end_amdhsa_kernel
	.section	.text._ZL33flash_attn_stream_k_fixup_uniformILi128ELi4ELi8EEvPfPK15HIP_vector_typeIfLj2EEiiiiiiS1_IjLj3EES5_S5_,"axG",@progbits,_ZL33flash_attn_stream_k_fixup_uniformILi128ELi4ELi8EEvPfPK15HIP_vector_typeIfLj2EEiiiiiiS1_IjLj3EES5_S5_,comdat
.Lfunc_end11:
	.size	_ZL33flash_attn_stream_k_fixup_uniformILi128ELi4ELi8EEvPfPK15HIP_vector_typeIfLj2EEiiiiiiS1_IjLj3EES5_S5_, .Lfunc_end11-_ZL33flash_attn_stream_k_fixup_uniformILi128ELi4ELi8EEvPfPK15HIP_vector_typeIfLj2EEiiiiiiS1_IjLj3EES5_S5_
                                        ; -- End function
	.set _ZL33flash_attn_stream_k_fixup_uniformILi128ELi4ELi8EEvPfPK15HIP_vector_typeIfLj2EEiiiiiiS1_IjLj3EES5_S5_.num_vgpr, 17
	.set _ZL33flash_attn_stream_k_fixup_uniformILi128ELi4ELi8EEvPfPK15HIP_vector_typeIfLj2EEiiiiiiS1_IjLj3EES5_S5_.num_agpr, 0
	.set _ZL33flash_attn_stream_k_fixup_uniformILi128ELi4ELi8EEvPfPK15HIP_vector_typeIfLj2EEiiiiiiS1_IjLj3EES5_S5_.numbered_sgpr, 24
	.set _ZL33flash_attn_stream_k_fixup_uniformILi128ELi4ELi8EEvPfPK15HIP_vector_typeIfLj2EEiiiiiiS1_IjLj3EES5_S5_.num_named_barrier, 0
	.set _ZL33flash_attn_stream_k_fixup_uniformILi128ELi4ELi8EEvPfPK15HIP_vector_typeIfLj2EEiiiiiiS1_IjLj3EES5_S5_.private_seg_size, 0
	.set _ZL33flash_attn_stream_k_fixup_uniformILi128ELi4ELi8EEvPfPK15HIP_vector_typeIfLj2EEiiiiiiS1_IjLj3EES5_S5_.uses_vcc, 1
	.set _ZL33flash_attn_stream_k_fixup_uniformILi128ELi4ELi8EEvPfPK15HIP_vector_typeIfLj2EEiiiiiiS1_IjLj3EES5_S5_.uses_flat_scratch, 0
	.set _ZL33flash_attn_stream_k_fixup_uniformILi128ELi4ELi8EEvPfPK15HIP_vector_typeIfLj2EEiiiiiiS1_IjLj3EES5_S5_.has_dyn_sized_stack, 0
	.set _ZL33flash_attn_stream_k_fixup_uniformILi128ELi4ELi8EEvPfPK15HIP_vector_typeIfLj2EEiiiiiiS1_IjLj3EES5_S5_.has_recursion, 0
	.set _ZL33flash_attn_stream_k_fixup_uniformILi128ELi4ELi8EEvPfPK15HIP_vector_typeIfLj2EEiiiiiiS1_IjLj3EES5_S5_.has_indirect_call, 0
	.section	.AMDGPU.csdata,"",@progbits
; Kernel info:
; codeLenInByte = 836
; TotalNumSgprs: 30
; NumVgprs: 17
; NumAgprs: 0
; TotalNumVgprs: 17
; ScratchSize: 0
; MemoryBound: 0
; FloatMode: 240
; IeeeMode: 1
; LDSByteSize: 0 bytes/workgroup (compile time only)
; SGPRBlocks: 3
; VGPRBlocks: 2
; NumSGPRsForWavesPerEU: 30
; NumVGPRsForWavesPerEU: 17
; AccumOffset: 20
; Occupancy: 8
; WaveLimiterHint : 0
; COMPUTE_PGM_RSRC2:SCRATCH_EN: 0
; COMPUTE_PGM_RSRC2:USER_SGPR: 2
; COMPUTE_PGM_RSRC2:TRAP_HANDLER: 0
; COMPUTE_PGM_RSRC2:TGID_X_EN: 1
; COMPUTE_PGM_RSRC2:TGID_Y_EN: 1
; COMPUTE_PGM_RSRC2:TGID_Z_EN: 1
; COMPUTE_PGM_RSRC2:TIDIG_COMP_CNT: 0
; COMPUTE_PGM_RSRC3_GFX90A:ACCUM_OFFSET: 4
; COMPUTE_PGM_RSRC3_GFX90A:TG_SPLIT: 0
	.section	.text._ZL33flash_attn_stream_k_fixup_generalILi128ELi4ELi8EEvPfPK15HIP_vector_typeIfLj2EEiiiiS1_IjLj3EES5_S5_S5_,"axG",@progbits,_ZL33flash_attn_stream_k_fixup_generalILi128ELi4ELi8EEvPfPK15HIP_vector_typeIfLj2EEiiiiS1_IjLj3EES5_S5_S5_,comdat
	.globl	_ZL33flash_attn_stream_k_fixup_generalILi128ELi4ELi8EEvPfPK15HIP_vector_typeIfLj2EEiiiiS1_IjLj3EES5_S5_S5_ ; -- Begin function _ZL33flash_attn_stream_k_fixup_generalILi128ELi4ELi8EEvPfPK15HIP_vector_typeIfLj2EEiiiiS1_IjLj3EES5_S5_S5_
	.p2align	8
	.type	_ZL33flash_attn_stream_k_fixup_generalILi128ELi4ELi8EEvPfPK15HIP_vector_typeIfLj2EEiiiiS1_IjLj3EES5_S5_S5_,@function
_ZL33flash_attn_stream_k_fixup_generalILi128ELi4ELi8EEvPfPK15HIP_vector_typeIfLj2EEiiiiS1_IjLj3EES5_S5_S5_: ; @_ZL33flash_attn_stream_k_fixup_generalILi128ELi4ELi8EEvPfPK15HIP_vector_typeIfLj2EEiiiiS1_IjLj3EES5_S5_S5_
; %bb.0:
	s_load_dwordx4 s[8:11], s[0:1], 0x10
	s_load_dword s22, s[0:1], 0x50
	s_mov_b32 s12, 0
	s_waitcnt lgkmcnt(0)
	s_mul_hi_i32 s13, s11, s2
	s_cmp_lg_u64 s[12:13], 0
	s_mul_i32 s5, s11, s2
	s_cbranch_scc0 .LBB12_20
; %bb.1:
	s_add_u32 s6, s22, 0
	s_addc_u32 s7, 0, 0
	s_xor_b64 s[6:7], s[6:7], 0
	v_cvt_f32_u32_e32 v1, s6
	v_cvt_f32_u32_e32 v2, s7
	s_sub_u32 s12, 0, s6
	s_subb_u32 s18, 0, s7
	v_fmamk_f32 v1, v2, 0x4f800000, v1
	v_rcp_f32_e32 v1, v1
	s_nop 0
	v_mul_f32_e32 v1, 0x5f7ffffc, v1
	v_mul_f32_e32 v2, 0x2f800000, v1
	v_trunc_f32_e32 v2, v2
	v_fmamk_f32 v1, v2, 0xcf800000, v1
	v_cvt_u32_f32_e32 v2, v2
	v_cvt_u32_f32_e32 v1, v1
	v_readfirstlane_b32 s19, v2
	v_readfirstlane_b32 s14, v1
	s_mul_i32 s15, s12, s19
	s_mul_hi_u32 s21, s12, s14
	s_mul_i32 s20, s18, s14
	s_add_i32 s15, s21, s15
	s_add_i32 s15, s15, s20
	s_mul_i32 s23, s12, s14
	s_mul_i32 s21, s14, s15
	s_mul_hi_u32 s24, s14, s23
	s_mul_hi_u32 s20, s14, s15
	s_add_u32 s21, s24, s21
	s_addc_u32 s20, 0, s20
	s_mul_hi_u32 s25, s19, s23
	s_mul_i32 s23, s19, s23
	s_add_u32 s21, s21, s23
	s_mul_hi_u32 s24, s19, s15
	s_addc_u32 s20, s20, s25
	s_addc_u32 s21, s24, 0
	s_mul_i32 s15, s19, s15
	s_add_u32 s15, s20, s15
	s_addc_u32 s20, 0, s21
	s_add_u32 s21, s14, s15
	s_cselect_b64 s[14:15], -1, 0
	s_cmp_lg_u64 s[14:15], 0
	s_addc_u32 s19, s19, s20
	s_mul_i32 s14, s12, s19
	s_mul_hi_u32 s15, s12, s21
	s_add_i32 s14, s15, s14
	s_mul_i32 s18, s18, s21
	s_add_i32 s14, s14, s18
	s_mul_i32 s12, s12, s21
	s_mul_hi_u32 s18, s19, s12
	s_mul_i32 s20, s19, s12
	s_mul_i32 s24, s21, s14
	s_mul_hi_u32 s12, s21, s12
	s_mul_hi_u32 s23, s21, s14
	s_add_u32 s12, s12, s24
	s_addc_u32 s23, 0, s23
	s_add_u32 s12, s12, s20
	s_mul_hi_u32 s15, s19, s14
	s_addc_u32 s12, s23, s18
	s_addc_u32 s15, s15, 0
	s_mul_i32 s14, s19, s14
	s_add_u32 s12, s12, s14
	s_addc_u32 s18, 0, s15
	s_add_u32 s20, s21, s12
	s_cselect_b64 s[14:15], -1, 0
	s_cmp_lg_u64 s[14:15], 0
	s_addc_u32 s18, s19, s18
	s_ashr_i32 s14, s13, 31
	s_add_u32 s12, s5, s14
	s_mov_b32 s15, s14
	s_addc_u32 s13, s13, s14
	s_xor_b64 s[12:13], s[12:13], s[14:15]
	s_mul_i32 s21, s12, s18
	s_mul_hi_u32 s23, s12, s20
	s_mul_hi_u32 s19, s12, s18
	s_add_u32 s21, s23, s21
	s_addc_u32 s19, 0, s19
	s_mul_hi_u32 s24, s13, s20
	s_mul_i32 s20, s13, s20
	s_add_u32 s20, s21, s20
	s_mul_hi_u32 s23, s13, s18
	s_addc_u32 s19, s19, s24
	s_addc_u32 s20, s23, 0
	s_mul_i32 s18, s13, s18
	s_add_u32 s23, s19, s18
	s_addc_u32 s24, 0, s20
	s_mul_i32 s18, s6, s24
	s_mul_hi_u32 s19, s6, s23
	s_add_i32 s18, s19, s18
	s_mul_i32 s19, s7, s23
	s_add_i32 s25, s18, s19
	s_sub_i32 s20, s13, s25
	s_mul_i32 s18, s6, s23
	s_sub_u32 s12, s12, s18
	s_cselect_b64 s[18:19], -1, 0
	s_cmp_lg_u64 s[18:19], 0
	s_subb_u32 s26, s20, s7
	s_sub_u32 s27, s12, s6
	s_cselect_b64 s[20:21], -1, 0
	s_cmp_lg_u64 s[20:21], 0
	s_subb_u32 s20, s26, 0
	s_cmp_ge_u32 s20, s7
	s_cselect_b32 s21, -1, 0
	s_cmp_ge_u32 s27, s6
	s_cselect_b32 s26, -1, 0
	s_cmp_eq_u32 s20, s7
	s_cselect_b32 s20, s26, s21
	s_add_u32 s21, s23, 1
	s_addc_u32 s26, s24, 0
	s_add_u32 s27, s23, 2
	s_addc_u32 s28, s24, 0
	s_cmp_lg_u32 s20, 0
	s_cselect_b32 s20, s27, s21
	s_cselect_b32 s21, s28, s26
	s_cmp_lg_u64 s[18:19], 0
	s_subb_u32 s13, s13, s25
	s_cmp_ge_u32 s13, s7
	s_cselect_b32 s18, -1, 0
	s_cmp_ge_u32 s12, s6
	s_cselect_b32 s6, -1, 0
	s_cmp_eq_u32 s13, s7
	s_cselect_b32 s6, s6, s18
	s_cmp_lg_u32 s6, 0
	s_cselect_b32 s7, s21, s24
	s_cselect_b32 s6, s20, s23
	s_xor_b64 s[12:13], s[14:15], 0
	s_xor_b64 s[6:7], s[6:7], s[12:13]
	s_sub_u32 s6, s6, s12
	s_load_dwordx4 s[12:15], s[0:1], 0x44
	s_cbranch_execnz .LBB12_3
.LBB12_2:
	v_cvt_f32_u32_e32 v1, s22
	s_sub_i32 s6, 0, s22
	v_rcp_iflag_f32_e32 v1, v1
	s_nop 0
	v_mul_f32_e32 v1, 0x4f7ffffe, v1
	v_cvt_u32_f32_e32 v1, v1
	s_nop 0
	v_readfirstlane_b32 s7, v1
	s_mul_i32 s6, s6, s7
	s_mul_hi_u32 s6, s7, s6
	s_add_i32 s7, s7, s6
	s_mul_hi_u32 s6, s5, s7
	s_waitcnt lgkmcnt(0)
	s_mul_i32 s15, s6, s22
	s_sub_i32 s5, s5, s15
	s_add_i32 s7, s6, 1
	s_sub_i32 s15, s5, s22
	s_cmp_ge_u32 s5, s22
	s_cselect_b32 s6, s7, s6
	s_cselect_b32 s5, s15, s5
	s_add_i32 s7, s6, 1
	s_cmp_ge_u32 s5, s22
	s_cselect_b32 s6, s7, s6
.LBB12_3:
	s_add_i32 s5, s2, 1
	s_mul_hi_i32 s21, s11, s5
	s_mov_b32 s20, 0
	s_cmp_lg_u64 s[20:21], 0
	s_mul_i32 s5, s11, s5
	s_cbranch_scc0 .LBB12_21
; %bb.4:
	s_add_u32 s16, s22, 0
	s_addc_u32 s17, 0, 0
	s_xor_b64 s[18:19], s[16:17], 0
	v_cvt_f32_u32_e32 v1, s18
	v_cvt_f32_u32_e32 v2, s19
	s_sub_u32 s7, 0, s18
	s_waitcnt lgkmcnt(0)
	s_subb_u32 s15, 0, s19
	v_fmamk_f32 v1, v2, 0x4f800000, v1
	v_rcp_f32_e32 v1, v1
	s_nop 0
	v_mul_f32_e32 v1, 0x5f7ffffc, v1
	v_mul_f32_e32 v2, 0x2f800000, v1
	v_trunc_f32_e32 v2, v2
	v_fmamk_f32 v1, v2, 0xcf800000, v1
	v_cvt_u32_f32_e32 v2, v2
	v_cvt_u32_f32_e32 v1, v1
	v_readfirstlane_b32 s20, v2
	v_readfirstlane_b32 s23, v1
	s_mul_i32 s24, s7, s20
	s_mul_hi_u32 s26, s7, s23
	s_mul_i32 s25, s15, s23
	s_add_i32 s24, s26, s24
	s_add_i32 s24, s24, s25
	s_mul_i32 s27, s7, s23
	s_mul_i32 s26, s23, s24
	s_mul_hi_u32 s28, s23, s27
	s_mul_hi_u32 s25, s23, s24
	s_add_u32 s26, s28, s26
	s_addc_u32 s25, 0, s25
	s_mul_hi_u32 s29, s20, s27
	s_mul_i32 s27, s20, s27
	s_add_u32 s26, s26, s27
	s_mul_hi_u32 s28, s20, s24
	s_addc_u32 s25, s25, s29
	s_addc_u32 s26, s28, 0
	s_mul_i32 s24, s20, s24
	s_add_u32 s24, s25, s24
	s_addc_u32 s26, 0, s26
	s_add_u32 s23, s23, s24
	s_cselect_b64 s[24:25], -1, 0
	s_cmp_lg_u64 s[24:25], 0
	s_addc_u32 s20, s20, s26
	s_mul_i32 s24, s7, s20
	s_mul_hi_u32 s25, s7, s23
	s_add_i32 s24, s25, s24
	s_mul_i32 s15, s15, s23
	s_add_i32 s24, s24, s15
	s_mul_i32 s7, s7, s23
	s_mul_hi_u32 s25, s20, s7
	s_mul_i32 s26, s20, s7
	s_mul_i32 s28, s23, s24
	s_mul_hi_u32 s7, s23, s7
	s_mul_hi_u32 s27, s23, s24
	s_add_u32 s7, s7, s28
	s_addc_u32 s27, 0, s27
	s_add_u32 s7, s7, s26
	s_mul_hi_u32 s15, s20, s24
	s_addc_u32 s7, s27, s25
	s_addc_u32 s15, s15, 0
	s_mul_i32 s24, s20, s24
	s_add_u32 s7, s7, s24
	s_addc_u32 s15, 0, s15
	s_add_u32 s7, s23, s7
	s_cselect_b64 s[24:25], -1, 0
	s_cmp_lg_u64 s[24:25], 0
	s_addc_u32 s15, s20, s15
	s_ashr_i32 s24, s21, 31
	s_add_u32 s20, s5, s24
	s_mov_b32 s25, s24
	s_addc_u32 s21, s21, s24
	s_xor_b64 s[20:21], s[20:21], s[24:25]
	s_mul_i32 s26, s20, s15
	s_mul_hi_u32 s27, s20, s7
	s_mul_hi_u32 s23, s20, s15
	s_add_u32 s26, s27, s26
	s_addc_u32 s23, 0, s23
	s_mul_hi_u32 s28, s21, s7
	s_mul_i32 s7, s21, s7
	s_add_u32 s7, s26, s7
	s_mul_hi_u32 s27, s21, s15
	s_addc_u32 s7, s23, s28
	s_addc_u32 s23, s27, 0
	s_mul_i32 s15, s21, s15
	s_add_u32 s7, s7, s15
	s_addc_u32 s15, 0, s23
	s_mul_i32 s23, s18, s15
	s_mul_hi_u32 s26, s18, s7
	s_add_i32 s23, s26, s23
	s_mul_i32 s26, s19, s7
	s_add_i32 s23, s23, s26
	s_sub_i32 s28, s21, s23
	s_mul_i32 s26, s18, s7
	s_sub_u32 s20, s20, s26
	s_cselect_b64 s[26:27], -1, 0
	s_cmp_lg_u64 s[26:27], 0
	s_subb_u32 s30, s28, s19
	s_sub_u32 s31, s20, s18
	s_cselect_b64 s[28:29], -1, 0
	s_cmp_lg_u64 s[28:29], 0
	s_subb_u32 s28, s30, 0
	s_cmp_ge_u32 s28, s19
	s_cselect_b32 s29, -1, 0
	s_cmp_ge_u32 s31, s18
	s_cselect_b32 s30, -1, 0
	s_cmp_eq_u32 s28, s19
	s_cselect_b32 s28, s30, s29
	s_add_u32 s29, s7, 1
	s_addc_u32 s30, s15, 0
	s_add_u32 s31, s7, 2
	s_addc_u32 s33, s15, 0
	s_cmp_lg_u32 s28, 0
	s_cselect_b32 s28, s31, s29
	s_cselect_b32 s29, s33, s30
	s_cmp_lg_u64 s[26:27], 0
	s_subb_u32 s21, s21, s23
	s_cmp_ge_u32 s21, s19
	s_cselect_b32 s23, -1, 0
	s_cmp_ge_u32 s20, s18
	s_cselect_b32 s18, -1, 0
	s_cmp_eq_u32 s21, s19
	s_cselect_b32 s18, s18, s23
	s_cmp_lg_u32 s18, 0
	s_cselect_b32 s19, s29, s15
	s_cselect_b32 s18, s28, s7
	s_xor_b64 s[20:21], s[24:25], 0
	s_xor_b64 s[18:19], s[18:19], s[20:21]
	s_sub_u32 s18, s18, s20
	s_cbranch_execnz .LBB12_6
.LBB12_5:
	v_cvt_f32_u32_e32 v1, s22
	s_sub_i32 s7, 0, s22
	v_rcp_iflag_f32_e32 v1, v1
	s_nop 0
	v_mul_f32_e32 v1, 0x4f7ffffe, v1
	v_cvt_u32_f32_e32 v1, v1
	s_waitcnt lgkmcnt(0)
	v_readfirstlane_b32 s15, v1
	s_mul_i32 s7, s7, s15
	s_mul_hi_u32 s7, s15, s7
	s_add_i32 s15, s15, s7
	s_mul_hi_u32 s7, s5, s15
	s_mul_i32 s16, s7, s22
	s_sub_i32 s5, s5, s16
	s_add_i32 s15, s7, 1
	s_sub_i32 s16, s5, s22
	s_cmp_ge_u32 s5, s22
	s_cselect_b32 s7, s15, s7
	s_cselect_b32 s5, s16, s5
	s_add_i32 s15, s7, 1
	s_cmp_ge_u32 s5, s22
	s_cselect_b32 s18, s15, s7
.LBB12_6:
	s_cmp_eq_u32 s6, s18
	s_waitcnt lgkmcnt(0)
	s_mul_hi_u32 s5, s6, s12
	s_cselect_b64 s[16:17], -1, 0
	s_add_i32 s5, s5, s6
	s_lshr_b32 s7, s5, s13
	s_mul_i32 s5, s7, s14
	s_cmp_eq_u32 s5, s6
	s_mul_hi_u32 s5, s18, s12
	s_cselect_b64 s[20:21], -1, 0
	s_add_i32 s5, s5, s18
	s_lshr_b32 s5, s5, s13
	s_cmp_eq_u32 s7, s5
	s_mul_i32 s5, s5, s14
	s_cselect_b64 s[24:25], -1, 0
	s_cmp_lg_u32 s5, s18
	s_cselect_b64 s[18:19], -1, 0
	s_and_b64 s[18:19], s[24:25], s[18:19]
	s_or_b64 s[16:17], s[16:17], s[20:21]
	s_or_b64 s[16:17], s[16:17], s[18:19]
	s_and_b64 vcc, exec, s[16:17]
	s_cbranch_vccnz .LBB12_23
; %bb.7:
	s_load_dwordx8 s[24:31], s[0:1], 0x20
	s_load_dword s15, s[0:1], 0x40
	s_waitcnt lgkmcnt(0)
	s_mul_hi_u32 s5, s6, s24
	s_add_i32 s5, s5, s6
	s_lshr_b32 s5, s5, s25
	s_mul_i32 s16, s5, s26
	s_sub_i32 s16, s6, s16
	s_mul_hi_u32 s17, s16, s27
	s_add_i32 s17, s16, s17
	s_lshr_b32 s20, s17, s28
	s_mul_i32 s17, s20, s29
	s_sub_i32 s16, s16, s17
	s_mul_hi_u32 s17, s16, s30
	s_add_i32 s17, s16, s17
	s_lshr_b32 s17, s17, s31
	s_mul_i32 s15, s17, s15
	s_sub_i32 s15, s16, s15
	s_mul_hi_u32 s16, s15, s12
	s_add_i32 s15, s15, s16
	s_lshr_b32 s23, s15, s13
	s_lshl_b32 s15, s23, 2
	s_lshl_b32 s21, s17, 3
	s_add_i32 s15, s15, s3
	s_cmp_lt_i32 s15, s8
	s_cselect_b64 s[16:17], -1, 0
	s_add_i32 s15, s21, s4
	s_cmp_lt_i32 s15, s10
	s_cselect_b64 s[18:19], -1, 0
	s_and_b64 s[16:17], s[16:17], s[18:19]
	s_andn2_b64 vcc, exec, s[16:17]
	s_cbranch_vccnz .LBB12_23
; %bb.8:
	s_load_dwordx4 s[16:19], s[0:1], 0x0
	s_mov_b32 s0, 0
	s_lshl_b32 s15, s3, 3
	s_lshl_b32 s24, s22, 7
	s_mov_b32 s25, s0
	s_add_i32 s15, s15, s4
	s_waitcnt lgkmcnt(0)
	v_mov_b32_e32 v2, s16
	v_mov_b32_e32 v3, s17
	s_lshl_b64 s[16:17], s[24:25], 2
	s_add_u32 s16, s18, s16
	s_mul_i32 s1, s5, s8
	s_addc_u32 s17, s19, s17
	s_add_i32 s1, s1, s3
	s_mul_i32 s1, s1, s9
	s_mul_i32 s20, s20, s10
	s_add_i32 s1, s1, s4
	s_add_i32 s1, s1, s20
	s_mul_i32 s5, s9, s23
	s_add_i32 s1, s1, s21
	s_lshl_b32 s5, s5, 9
	s_lshl_b32 s1, s1, 7
	s_add_i32 s5, s5, s1
	v_or_b32_e32 v4, s5, v0
	v_ashrrev_i32_e32 v5, 31, v4
	v_lshl_add_u64 v[2:3], v[4:5], 2, v[2:3]
	global_load_dword v1, v[2:3], off
	v_cvt_f32_u32_e32 v4, s22
	s_lshl_b32 s1, s2, 5
	s_add_i32 s4, s15, s1
	s_ashr_i32 s5, s4, 31
	s_lshl_b64 s[4:5], s[4:5], 3
	v_rcp_iflag_f32_e32 v4, v4
	s_add_u32 s4, s18, s4
	s_addc_u32 s5, s19, s5
	s_load_dwordx2 s[4:5], s[4:5], 0x0
	v_mul_f32_e32 v4, 0x4f7ffffe, v4
	v_cvt_u32_f32_e32 v7, v4
	s_add_i32 s24, s2, -1
	v_lshl_or_b32 v6, s15, 7, v0
	s_waitcnt lgkmcnt(0)
	v_mov_b32_e32 v0, s5
	v_mov_b32_e32 v9, s4
	s_mov_b32 s10, 0x3fb8aa3b
	s_mov_b32 s20, 0xc2ce8ed0
	;; [unrolled: 1-line block ×4, first 2 shown]
	v_mov_b32_e32 v8, 0x7f800000
	s_mul_hi_i32 s1, s24, s11
	s_cmp_lg_u64 s[0:1], 0
	s_mul_i32 s8, s24, s11
	s_cbranch_scc0 .LBB12_19
.LBB12_9:
	s_add_u32 s2, s22, 0
	s_addc_u32 s3, 0, 0
	s_xor_b64 s[2:3], s[2:3], 0
	v_cvt_f32_u32_e32 v4, s2
	v_cvt_f32_u32_e32 v5, s3
	s_sub_u32 s9, 0, s2
	s_subb_u32 s25, 0, s3
	v_fmac_f32_e32 v4, 0x4f800000, v5
	v_rcp_f32_e32 v4, v4
	s_nop 0
	v_mul_f32_e32 v4, 0x5f7ffffc, v4
	v_mul_f32_e32 v5, 0x2f800000, v4
	v_trunc_f32_e32 v5, v5
	v_fmac_f32_e32 v4, 0xcf800000, v5
	v_cvt_u32_f32_e32 v5, v5
	v_cvt_u32_f32_e32 v4, v4
	v_readfirstlane_b32 s26, v5
	v_readfirstlane_b32 s4, v4
	s_mul_i32 s5, s9, s26
	s_mul_hi_u32 s28, s9, s4
	s_mul_i32 s27, s25, s4
	s_add_i32 s5, s28, s5
	s_mul_i32 s29, s9, s4
	s_add_i32 s5, s5, s27
	s_mul_i32 s28, s4, s5
	s_mul_hi_u32 s30, s4, s29
	s_mul_hi_u32 s27, s4, s5
	s_add_u32 s28, s30, s28
	s_addc_u32 s27, 0, s27
	s_mul_hi_u32 s31, s26, s29
	s_mul_i32 s29, s26, s29
	s_add_u32 s28, s28, s29
	s_mul_hi_u32 s30, s26, s5
	s_addc_u32 s27, s27, s31
	s_addc_u32 s28, s30, 0
	s_mul_i32 s5, s26, s5
	s_add_u32 s5, s27, s5
	s_addc_u32 s27, 0, s28
	s_add_u32 s28, s4, s5
	s_cselect_b64 s[4:5], -1, 0
	s_cmp_lg_u64 s[4:5], 0
	s_addc_u32 s26, s26, s27
	s_mul_i32 s4, s9, s26
	s_mul_hi_u32 s5, s9, s28
	s_add_i32 s4, s5, s4
	s_mul_i32 s25, s25, s28
	s_add_i32 s4, s4, s25
	s_mul_i32 s9, s9, s28
	s_mul_hi_u32 s25, s26, s9
	s_mul_i32 s27, s26, s9
	s_mul_i32 s30, s28, s4
	s_mul_hi_u32 s9, s28, s9
	s_mul_hi_u32 s29, s28, s4
	s_add_u32 s9, s9, s30
	s_addc_u32 s29, 0, s29
	s_add_u32 s9, s9, s27
	s_mul_hi_u32 s5, s26, s4
	s_addc_u32 s9, s29, s25
	s_addc_u32 s5, s5, 0
	s_mul_i32 s4, s26, s4
	s_add_u32 s4, s9, s4
	s_addc_u32 s9, 0, s5
	s_add_u32 s25, s28, s4
	s_cselect_b64 s[4:5], -1, 0
	s_cmp_lg_u64 s[4:5], 0
	s_addc_u32 s9, s26, s9
	s_ashr_i32 s4, s1, 31
	s_add_u32 s26, s8, s4
	s_mov_b32 s5, s4
	s_addc_u32 s27, s1, s4
	s_xor_b64 s[26:27], s[26:27], s[4:5]
	s_mul_i32 s28, s26, s9
	s_mul_hi_u32 s29, s26, s25
	s_mul_hi_u32 s1, s26, s9
	s_add_u32 s28, s29, s28
	s_addc_u32 s1, 0, s1
	s_mul_hi_u32 s30, s27, s25
	s_mul_i32 s25, s27, s25
	s_add_u32 s25, s28, s25
	s_mul_hi_u32 s29, s27, s9
	s_addc_u32 s1, s1, s30
	s_addc_u32 s25, s29, 0
	s_mul_i32 s9, s27, s9
	s_add_u32 s1, s1, s9
	s_addc_u32 s9, 0, s25
	s_mul_i32 s25, s2, s9
	s_mul_hi_u32 s28, s2, s1
	s_add_i32 s25, s28, s25
	s_mul_i32 s28, s3, s1
	s_add_i32 s25, s25, s28
	s_sub_i32 s30, s27, s25
	s_mul_i32 s28, s2, s1
	s_sub_u32 s26, s26, s28
	s_cselect_b64 s[28:29], -1, 0
	s_cmp_lg_u64 s[28:29], 0
	s_subb_u32 s33, s30, s3
	s_sub_u32 s34, s26, s2
	s_cselect_b64 s[30:31], -1, 0
	s_cmp_lg_u64 s[30:31], 0
	s_subb_u32 s30, s33, 0
	s_cmp_ge_u32 s30, s3
	s_cselect_b32 s31, -1, 0
	s_cmp_ge_u32 s34, s2
	s_cselect_b32 s33, -1, 0
	s_cmp_eq_u32 s30, s3
	s_cselect_b32 s30, s33, s31
	s_add_u32 s31, s1, 1
	s_addc_u32 s33, s9, 0
	s_add_u32 s34, s1, 2
	s_addc_u32 s35, s9, 0
	s_cmp_lg_u32 s30, 0
	s_cselect_b32 s30, s34, s31
	s_cselect_b32 s31, s35, s33
	s_cmp_lg_u64 s[28:29], 0
	s_subb_u32 s25, s27, s25
	s_cmp_ge_u32 s25, s3
	s_cselect_b32 s27, -1, 0
	s_cmp_ge_u32 s26, s2
	s_cselect_b32 s2, -1, 0
	s_cmp_eq_u32 s25, s3
	s_cselect_b32 s2, s2, s27
	s_cmp_lg_u32 s2, 0
	s_cselect_b32 s3, s31, s9
	s_cselect_b32 s2, s30, s1
	s_xor_b64 s[4:5], s[4:5], 0
	s_xor_b64 s[2:3], s[2:3], s[4:5]
	s_sub_u32 s4, s2, s4
	s_cbranch_execnz .LBB12_11
.LBB12_10:
	s_sub_i32 s1, 0, s22
	v_readfirstlane_b32 s2, v7
	s_mul_i32 s1, s1, s2
	s_mul_hi_u32 s1, s2, s1
	s_add_i32 s2, s2, s1
	s_mul_hi_u32 s1, s8, s2
	s_mul_i32 s3, s1, s22
	s_sub_i32 s3, s8, s3
	s_add_i32 s2, s1, 1
	s_sub_i32 s4, s3, s22
	s_cmp_ge_u32 s3, s22
	s_cselect_b32 s1, s2, s1
	s_cselect_b32 s3, s4, s3
	s_add_i32 s2, s1, 1
	s_cmp_ge_u32 s3, s22
	s_cselect_b32 s4, s2, s1
.LBB12_11:
	s_cmp_lg_u32 s6, s4
	s_cbranch_scc0 .LBB12_15
; %bb.12:
	s_add_i32 s1, s24, s22
	s_lshl_b32 s1, s1, 5
	s_add_i32 s2, s1, s15
	s_mov_b32 s3, s0
	s_lshl_b64 s[2:3], s[2:3], 3
	s_add_u32 s8, s18, s2
	s_mul_hi_u32 s1, s4, s12
	s_addc_u32 s9, s19, s3
	s_add_i32 s1, s1, s4
	s_lshr_b32 s1, s1, s13
	s_mul_i32 s2, s1, s14
	s_cmp_eq_u32 s2, s4
	s_cselect_b64 s[2:3], -1, 0
	s_cmp_lt_u32 s1, s7
	s_cselect_b64 s[26:27], -1, 0
	s_or_b64 s[26:27], s[26:27], s[2:3]
	s_mov_b64 s[2:3], -1
	s_and_b64 vcc, exec, s[26:27]
	s_mov_b32 s1, s24
	s_mov_b32 s25, s6
	s_cbranch_vccnz .LBB12_14
; %bb.13:
	s_add_i32 s1, s24, -1
	s_mov_b64 s[2:3], 0
	s_mov_b32 s25, s4
.LBB12_14:
	v_lshl_add_u32 v4, s24, 12, v6
	v_ashrrev_i32_e32 v5, 31, v4
	v_lshl_add_u64 v[4:5], v[4:5], 2, s[16:17]
	global_load_dword v5, v[4:5], off
	s_load_dwordx2 s[4:5], s[8:9], 0x0
	v_max_f32_e32 v4, v9, v9
	s_waitcnt lgkmcnt(0)
	v_max_f32_e64 v10, s4, s4
	v_max_f32_e32 v10, v4, v10
	v_sub_f32_e32 v11, v9, v10
	v_sub_f32_e32 v13, s4, v10
	v_mul_f32_e32 v4, 0x3fb8aa3b, v11
	v_mul_f32_e32 v12, 0x3fb8aa3b, v13
	v_fma_f32 v14, v11, s10, -v4
	v_rndne_f32_e32 v15, v4
	v_fma_f32 v16, v13, s10, -v12
	v_rndne_f32_e32 v17, v12
	v_fmac_f32_e32 v14, 0x32a5705f, v11
	v_sub_f32_e32 v4, v4, v15
	v_fmac_f32_e32 v16, 0x32a5705f, v13
	v_sub_f32_e32 v12, v12, v17
	v_add_f32_e32 v4, v4, v14
	v_cvt_i32_f32_e32 v15, v15
	v_add_f32_e32 v12, v12, v16
	v_exp_f32_e32 v14, v4
	v_cvt_i32_f32_e32 v17, v17
	v_exp_f32_e32 v12, v12
	v_cmp_ngt_f32_e32 vcc, s20, v11
	v_ldexp_f32 v14, v14, v15
	v_mov_b32_e32 v4, s5
	v_ldexp_f32 v12, v12, v17
	v_cndmask_b32_e32 v14, 0, v14, vcc
	v_cmp_ngt_f32_e32 vcc, s20, v13
	s_nop 1
	v_cndmask_b32_e32 v12, 0, v12, vcc
	v_cmp_nlt_f32_e32 vcc, s21, v11
	s_nop 1
	v_cndmask_b32_e32 v14, v8, v14, vcc
	v_cmp_nlt_f32_e32 vcc, s21, v13
	s_nop 1
	v_cndmask_b32_e32 v15, v8, v12, vcc
	v_cmp_le_f32_e32 vcc, s23, v11
	s_nop 1
	v_cndmask_b32_e32 v12, 0, v14, vcc
	v_cmp_le_f32_e32 vcc, s23, v13
	s_nop 1
	v_cndmask_b32_e32 v14, 0, v15, vcc
	s_waitcnt vmcnt(0)
	v_pk_mul_f32 v[4:5], v[4:5], v[14:15] op_sel_hi:[1,0]
	s_nop 0
	v_pk_fma_f32 v[4:5], v[0:1], v[12:13], v[4:5] op_sel_hi:[1,0,1]
	s_cbranch_execz .LBB12_16
	s_branch .LBB12_17
.LBB12_15:
                                        ; implicit-def: $vgpr4_vgpr5
                                        ; implicit-def: $sgpr2_sgpr3
                                        ; implicit-def: $vgpr10
                                        ; implicit-def: $sgpr1
                                        ; implicit-def: $sgpr25
.LBB12_16:
	s_add_i32 s1, s24, -1
	s_mov_b64 s[2:3], 0
	s_mov_b32 s25, s6
	v_mov_b32_e32 v10, v9
	s_waitcnt vmcnt(0)
	v_mov_b64_e32 v[4:5], v[0:1]
.LBB12_17:
	s_andn2_b64 vcc, exec, s[2:3]
	s_cbranch_vccz .LBB12_22
; %bb.18:
	s_mov_b32 s6, s25
	s_mov_b32 s24, s1
	v_mov_b32_e32 v9, v10
	s_waitcnt vmcnt(0)
	v_mov_b64_e32 v[0:1], v[4:5]
	s_mul_hi_i32 s1, s24, s11
	s_cmp_lg_u64 s[0:1], 0
	s_mul_i32 s8, s24, s11
	s_cbranch_scc1 .LBB12_9
.LBB12_19:
                                        ; implicit-def: $sgpr4_sgpr5
	s_branch .LBB12_10
.LBB12_20:
                                        ; implicit-def: $sgpr6_sgpr7
	s_load_dwordx4 s[12:15], s[0:1], 0x44
	s_branch .LBB12_2
.LBB12_21:
                                        ; implicit-def: $sgpr18_sgpr19
	s_branch .LBB12_5
.LBB12_22:
	v_div_scale_f32 v0, s[0:1], v4, v4, v5
	s_waitcnt vmcnt(0)
	v_rcp_f32_e32 v1, v0
	v_div_scale_f32 v6, vcc, v5, v4, v5
	v_fma_f32 v7, -v0, v1, 1.0
	v_fmac_f32_e32 v1, v7, v1
	v_mul_f32_e32 v7, v6, v1
	v_fma_f32 v8, -v0, v7, v6
	v_fmac_f32_e32 v7, v8, v1
	v_fma_f32 v0, -v0, v7, v6
	v_div_fmas_f32 v0, v0, v1, v7
	v_div_fixup_f32 v0, v0, v4, v5
	global_store_dword v[2:3], v0, off
.LBB12_23:
	s_endpgm
	.section	.rodata,"a",@progbits
	.p2align	6, 0x0
	.amdhsa_kernel _ZL33flash_attn_stream_k_fixup_generalILi128ELi4ELi8EEvPfPK15HIP_vector_typeIfLj2EEiiiiS1_IjLj3EES5_S5_S5_
		.amdhsa_group_segment_fixed_size 0
		.amdhsa_private_segment_fixed_size 0
		.amdhsa_kernarg_size 336
		.amdhsa_user_sgpr_count 2
		.amdhsa_user_sgpr_dispatch_ptr 0
		.amdhsa_user_sgpr_queue_ptr 0
		.amdhsa_user_sgpr_kernarg_segment_ptr 1
		.amdhsa_user_sgpr_dispatch_id 0
		.amdhsa_user_sgpr_kernarg_preload_length 0
		.amdhsa_user_sgpr_kernarg_preload_offset 0
		.amdhsa_user_sgpr_private_segment_size 0
		.amdhsa_uses_dynamic_stack 0
		.amdhsa_enable_private_segment 0
		.amdhsa_system_sgpr_workgroup_id_x 1
		.amdhsa_system_sgpr_workgroup_id_y 1
		.amdhsa_system_sgpr_workgroup_id_z 1
		.amdhsa_system_sgpr_workgroup_info 0
		.amdhsa_system_vgpr_workitem_id 0
		.amdhsa_next_free_vgpr 18
		.amdhsa_next_free_sgpr 36
		.amdhsa_accum_offset 20
		.amdhsa_reserve_vcc 1
		.amdhsa_float_round_mode_32 0
		.amdhsa_float_round_mode_16_64 0
		.amdhsa_float_denorm_mode_32 3
		.amdhsa_float_denorm_mode_16_64 3
		.amdhsa_dx10_clamp 1
		.amdhsa_ieee_mode 1
		.amdhsa_fp16_overflow 0
		.amdhsa_tg_split 0
		.amdhsa_exception_fp_ieee_invalid_op 0
		.amdhsa_exception_fp_denorm_src 0
		.amdhsa_exception_fp_ieee_div_zero 0
		.amdhsa_exception_fp_ieee_overflow 0
		.amdhsa_exception_fp_ieee_underflow 0
		.amdhsa_exception_fp_ieee_inexact 0
		.amdhsa_exception_int_div_zero 0
	.end_amdhsa_kernel
	.section	.text._ZL33flash_attn_stream_k_fixup_generalILi128ELi4ELi8EEvPfPK15HIP_vector_typeIfLj2EEiiiiS1_IjLj3EES5_S5_S5_,"axG",@progbits,_ZL33flash_attn_stream_k_fixup_generalILi128ELi4ELi8EEvPfPK15HIP_vector_typeIfLj2EEiiiiS1_IjLj3EES5_S5_S5_,comdat
.Lfunc_end12:
	.size	_ZL33flash_attn_stream_k_fixup_generalILi128ELi4ELi8EEvPfPK15HIP_vector_typeIfLj2EEiiiiS1_IjLj3EES5_S5_S5_, .Lfunc_end12-_ZL33flash_attn_stream_k_fixup_generalILi128ELi4ELi8EEvPfPK15HIP_vector_typeIfLj2EEiiiiS1_IjLj3EES5_S5_S5_
                                        ; -- End function
	.set _ZL33flash_attn_stream_k_fixup_generalILi128ELi4ELi8EEvPfPK15HIP_vector_typeIfLj2EEiiiiS1_IjLj3EES5_S5_S5_.num_vgpr, 18
	.set _ZL33flash_attn_stream_k_fixup_generalILi128ELi4ELi8EEvPfPK15HIP_vector_typeIfLj2EEiiiiS1_IjLj3EES5_S5_S5_.num_agpr, 0
	.set _ZL33flash_attn_stream_k_fixup_generalILi128ELi4ELi8EEvPfPK15HIP_vector_typeIfLj2EEiiiiS1_IjLj3EES5_S5_S5_.numbered_sgpr, 36
	.set _ZL33flash_attn_stream_k_fixup_generalILi128ELi4ELi8EEvPfPK15HIP_vector_typeIfLj2EEiiiiS1_IjLj3EES5_S5_S5_.num_named_barrier, 0
	.set _ZL33flash_attn_stream_k_fixup_generalILi128ELi4ELi8EEvPfPK15HIP_vector_typeIfLj2EEiiiiS1_IjLj3EES5_S5_S5_.private_seg_size, 0
	.set _ZL33flash_attn_stream_k_fixup_generalILi128ELi4ELi8EEvPfPK15HIP_vector_typeIfLj2EEiiiiS1_IjLj3EES5_S5_S5_.uses_vcc, 1
	.set _ZL33flash_attn_stream_k_fixup_generalILi128ELi4ELi8EEvPfPK15HIP_vector_typeIfLj2EEiiiiS1_IjLj3EES5_S5_S5_.uses_flat_scratch, 0
	.set _ZL33flash_attn_stream_k_fixup_generalILi128ELi4ELi8EEvPfPK15HIP_vector_typeIfLj2EEiiiiS1_IjLj3EES5_S5_S5_.has_dyn_sized_stack, 0
	.set _ZL33flash_attn_stream_k_fixup_generalILi128ELi4ELi8EEvPfPK15HIP_vector_typeIfLj2EEiiiiS1_IjLj3EES5_S5_S5_.has_recursion, 0
	.set _ZL33flash_attn_stream_k_fixup_generalILi128ELi4ELi8EEvPfPK15HIP_vector_typeIfLj2EEiiiiS1_IjLj3EES5_S5_S5_.has_indirect_call, 0
	.section	.AMDGPU.csdata,"",@progbits
; Kernel info:
; codeLenInByte = 2940
; TotalNumSgprs: 42
; NumVgprs: 18
; NumAgprs: 0
; TotalNumVgprs: 18
; ScratchSize: 0
; MemoryBound: 0
; FloatMode: 240
; IeeeMode: 1
; LDSByteSize: 0 bytes/workgroup (compile time only)
; SGPRBlocks: 5
; VGPRBlocks: 2
; NumSGPRsForWavesPerEU: 42
; NumVGPRsForWavesPerEU: 18
; AccumOffset: 20
; Occupancy: 8
; WaveLimiterHint : 0
; COMPUTE_PGM_RSRC2:SCRATCH_EN: 0
; COMPUTE_PGM_RSRC2:USER_SGPR: 2
; COMPUTE_PGM_RSRC2:TRAP_HANDLER: 0
; COMPUTE_PGM_RSRC2:TGID_X_EN: 1
; COMPUTE_PGM_RSRC2:TGID_Y_EN: 1
; COMPUTE_PGM_RSRC2:TGID_Z_EN: 1
; COMPUTE_PGM_RSRC2:TIDIG_COMP_CNT: 0
; COMPUTE_PGM_RSRC3_GFX90A:ACCUM_OFFSET: 4
; COMPUTE_PGM_RSRC3_GFX90A:TG_SPLIT: 0
	.section	.text._ZL15flash_attn_tileILi192ELi128ELi2ELi8ELb0EEvPKcS1_S1_S1_S1_PKiPfP15HIP_vector_typeIfLj2EEffffjfiS5_IjLj3EEiiiiiiiiiiiliiliiiiil,"axG",@progbits,_ZL15flash_attn_tileILi192ELi128ELi2ELi8ELb0EEvPKcS1_S1_S1_S1_PKiPfP15HIP_vector_typeIfLj2EEffffjfiS5_IjLj3EEiiiiiiiiiiiliiliiiiil,comdat
	.globl	_ZL15flash_attn_tileILi192ELi128ELi2ELi8ELb0EEvPKcS1_S1_S1_S1_PKiPfP15HIP_vector_typeIfLj2EEffffjfiS5_IjLj3EEiiiiiiiiiiiliiliiiiil ; -- Begin function _ZL15flash_attn_tileILi192ELi128ELi2ELi8ELb0EEvPKcS1_S1_S1_S1_PKiPfP15HIP_vector_typeIfLj2EEffffjfiS5_IjLj3EEiiiiiiiiiiiliiliiiiil
	.p2align	8
	.type	_ZL15flash_attn_tileILi192ELi128ELi2ELi8ELb0EEvPKcS1_S1_S1_S1_PKiPfP15HIP_vector_typeIfLj2EEffffjfiS5_IjLj3EEiiiiiiiiiiiliiliiiiil,@function
_ZL15flash_attn_tileILi192ELi128ELi2ELi8ELb0EEvPKcS1_S1_S1_S1_PKiPfP15HIP_vector_typeIfLj2EEffffjfiS5_IjLj3EEiiiiiiiiiiiliiliiiiil: ; @_ZL15flash_attn_tileILi192ELi128ELi2ELi8ELb0EEvPKcS1_S1_S1_S1_PKiPfP15HIP_vector_typeIfLj2EEffffjfiS5_IjLj3EEiiiiiiiiiiiliiliiiiil
; %bb.0:
	s_load_dwordx4 s[28:31], s[0:1], 0x5c
	s_load_dwordx2 s[34:35], s[0:1], 0x80
	s_load_dwordx16 s[12:27], s[0:1], 0x0
	s_mov_b64 s[36:37], 0
	s_waitcnt lgkmcnt(0)
	s_ashr_i32 s5, s31, 31
	s_lshr_b32 s5, s5, 29
	s_add_i32 s5, s31, s5
	s_ashr_i32 s5, s5, 3
	v_cvt_f32_u32_e32 v1, s5
	s_sub_i32 s6, 0, s5
	v_rcp_iflag_f32_e32 v1, v1
	s_nop 0
	v_mul_f32_e32 v1, 0x4f7ffffe, v1
	v_cvt_u32_f32_e32 v1, v1
	s_nop 0
	v_readfirstlane_b32 s7, v1
	s_mul_i32 s6, s6, s7
	s_mul_hi_u32 s6, s7, s6
	s_add_i32 s7, s7, s6
	s_mul_hi_u32 s6, s4, s7
	s_mul_i32 s7, s6, s5
	s_sub_i32 s7, s4, s7
	s_add_i32 s8, s6, 1
	s_sub_i32 s9, s7, s5
	s_cmp_ge_u32 s7, s5
	s_cselect_b32 s6, s8, s6
	s_cselect_b32 s7, s9, s7
	s_add_i32 s8, s6, 1
	s_cmp_ge_u32 s7, s5
	s_cselect_b32 s33, s8, s6
	s_abs_i32 s5, s35
	v_cvt_f32_u32_e32 v1, s5
	s_lshl_b32 s4, s4, 3
	s_mul_i32 s8, s33, s31
	s_xor_b32 s6, s31, s35
	v_rcp_iflag_f32_e32 v1, v1
	s_sub_i32 s9, 0, s5
	s_sub_i32 s35, s4, s8
	s_abs_i32 s7, s31
	v_mul_f32_e32 v1, 0x4f7ffffe, v1
	v_cvt_u32_f32_e32 v1, v1
	s_ashr_i32 s6, s6, 31
	v_readfirstlane_b32 s4, v1
	s_mul_i32 s9, s9, s4
	s_mul_hi_u32 s8, s4, s9
	s_add_i32 s4, s4, s8
	s_mul_hi_u32 s4, s7, s4
	s_mul_i32 s8, s4, s5
	s_sub_i32 s7, s7, s8
	s_add_i32 s9, s4, 1
	s_sub_i32 s8, s7, s5
	s_cmp_ge_u32 s7, s5
	s_cselect_b32 s4, s9, s4
	s_cselect_b32 s7, s8, s7
	s_add_i32 s8, s4, 1
	s_cmp_ge_u32 s7, s5
	s_cselect_b32 s4, s8, s4
	s_xor_b32 s4, s4, s6
	s_sub_i32 s39, s4, s6
	s_abs_i32 s38, s39
	v_cvt_f32_u32_e32 v1, s38
	s_load_dwordx2 s[4:5], s[0:1], 0xb8
	s_cmp_eq_u64 s[18:19], 0
	v_rcp_iflag_f32_e32 v1, v1
	s_nop 0
	v_mul_f32_e32 v1, 0x4f7ffffe, v1
	v_cvt_u32_f32_e32 v1, v1
	s_nop 0
	v_readfirstlane_b32 s40, v1
	s_cbranch_scc1 .LBB13_2
; %bb.1:
	s_waitcnt lgkmcnt(0)
	s_abs_i32 s4, s4
	v_cvt_f32_u32_e32 v1, s4
	s_sub_i32 s10, 0, s4
	s_abs_i32 s9, s33
	s_ashr_i32 s8, s33, 31
	v_rcp_iflag_f32_e32 v1, v1
	s_load_dwordx2 s[6:7], s[0:1], 0xc8
	v_mul_f32_e32 v1, 0x4f7ffffe, v1
	v_cvt_u32_f32_e32 v1, v1
	s_nop 0
	v_readfirstlane_b32 s11, v1
	s_mul_i32 s10, s10, s11
	s_mul_hi_u32 s10, s11, s10
	s_add_i32 s11, s11, s10
	s_mul_hi_u32 s10, s9, s11
	s_mul_i32 s10, s10, s4
	s_sub_i32 s9, s9, s10
	s_sub_i32 s10, s9, s4
	s_cmp_ge_u32 s9, s4
	s_cselect_b32 s9, s10, s9
	s_sub_i32 s10, s9, s4
	s_cmp_ge_u32 s9, s4
	s_cselect_b32 s4, s10, s9
	s_xor_b32 s4, s4, s8
	s_sub_i32 s4, s4, s8
	s_ashr_i32 s8, s4, 31
	s_waitcnt lgkmcnt(0)
	s_mul_hi_u32 s9, s6, s4
	s_mul_i32 s8, s6, s8
	s_mul_i32 s7, s7, s4
	s_add_i32 s8, s9, s8
	s_add_i32 s8, s8, s7
	s_mul_i32 s4, s6, s4
	s_add_u32 s36, s18, s4
	s_addc_u32 s37, s19, s8
.LBB13_2:
	s_load_dwordx4 s[44:47], s[0:1], 0x70
	v_lshrrev_b32_e32 v1, 10, v0
	v_bfe_u32 v1, v1, 2, 8
	v_lshl_add_u32 v1, s2, 1, v1
	v_mul_hi_u32 v2, s28, v1
	s_waitcnt lgkmcnt(0)
	s_mul_i32 s4, s33, s46
	s_ashr_i32 s7, s4, 31
	s_mul_i32 s6, s35, s45
	s_add_u32 s4, s12, s4
	s_addc_u32 s7, s13, s7
	s_ashr_i32 s8, s6, 31
	v_add_u32_e32 v2, v1, v2
	s_add_u32 s6, s4, s6
	v_lshrrev_b32_e32 v2, s29, v2
	s_addc_u32 s7, s7, s8
	s_ashr_i32 s11, s45, 31
	s_mov_b32 s10, s45
	v_mul_lo_u32 v2, v2, s30
	s_ashr_i32 s45, s44, 31
	v_sub_u32_e32 v8, v1, v2
	s_lshr_b64 s[12:13], s[44:45], 2
	v_mad_u64_u32 v[2:3], s[12:13], s12, v8, 0
	v_mov_b32_e32 v4, v3
	s_lshr_b32 s4, s45, 2
	v_bfe_u32 v11, v0, 10, 10
	v_mad_u64_u32 v[4:5], s[12:13], s4, v8, v[4:5]
	v_lshlrev_b32_e32 v10, 1, v11
	v_and_b32_e32 v0, 0x3ff, v0
	v_mov_b32_e32 v3, v4
	s_lshr_b64 s[8:9], s[10:11], 2
	v_lshl_add_u64 v[2:3], v[2:3], 2, s[6:7]
	v_lshlrev_b32_e32 v4, 4, v0
	v_mov_b32_e32 v5, 0
	v_and_b32_e32 v14, 6, v10
	v_lshl_add_u64 v[2:3], v[2:3], 0, v[4:5]
	v_mad_u64_u32 v[4:5], s[6:7], s8, v14, 0
	v_mov_b32_e32 v6, v5
	s_lshr_b32 s4, s11, 2
	v_mad_u64_u32 v[6:7], s[6:7], s4, v14, v[6:7]
	v_mov_b32_e32 v5, v6
	v_lshl_add_u64 v[4:5], v[4:5], 2, v[2:3]
	global_load_dwordx4 v[18:21], v[4:5], off
	s_load_dword s6, s[0:1], 0x40
	s_movk_i32 s4, 0x300
	v_lshlrev_b32_e32 v13, 3, v0
	v_mul_u32_u24_e32 v16, 0x300, v11
	v_mad_u32_u24 v9, v11, s4, v13
	s_waitcnt lgkmcnt(0)
	s_mov_b32 s7, s6
	v_cmp_gt_u32_e32 vcc, 16, v0
	s_waitcnt vmcnt(0)
	v_fma_mixlo_f16 v6, s6, v18, 0
	v_fma_mixlo_f16 v7, s6, v20, 0
	v_mov_b32_e32 v18, v21
	v_and_b32_e32 v12, 0xffff, v6
	v_and_b32_e32 v15, 0xffff, v7
	v_pk_mul_f32 v[6:7], s[6:7], v[18:19] op_sel_hi:[0,1]
	v_cvt_pk_f16_f32 v6, v6, v7
	v_lshlrev_b32_e32 v7, 16, v6
	v_and_b32_e32 v6, 0xffff0000, v6
	v_or_b32_e32 v6, v6, v12
	v_or3_b32 v7, v7, v15, 0
	v_or3_b32 v6, 0, 0, v6
	ds_write_b64 v9, v[6:7]
	s_and_saveexec_b64 s[10:11], vcc
	s_cbranch_execz .LBB13_4
; %bb.3:
	global_load_dwordx4 v[4:7], v[4:5], off offset:512
	s_waitcnt vmcnt(0)
	v_fma_mixlo_f16 v9, s6, v4, 0
	v_mov_b32_e32 v4, v7
	v_pk_mul_f32 v[4:5], s[6:7], v[4:5]
	v_fma_mixlo_f16 v6, s6, v6, 0
	v_cvt_pk_f16_f32 v4, v4, v5
	v_and_b32_e32 v7, 0xffff, v9
	v_lshlrev_b32_e32 v5, 16, v4
	v_and_b32_e32 v4, 0xffff0000, v4
	v_and_b32_e32 v6, 0xffff, v6
	v_or_b32_e32 v4, v4, v7
	v_or3_b32 v5, v5, v6, 0
	v_or3_b32 v4, 0, 0, v4
	v_add_u32_e32 v6, v13, v16
	ds_write_b64 v6, v[4:5] offset:256
.LBB13_4:
	s_or_b64 exec, exec, s[10:11]
	v_bitop3_b32 v7, v10, 7, 1 bitop3:0xc8
	v_mad_u64_u32 v[4:5], s[10:11], s8, v7, 0
	v_mov_b32_e32 v6, v5
	v_mad_u64_u32 v[6:7], s[8:9], s9, v7, v[6:7]
	v_mov_b32_e32 v5, v6
	v_lshl_add_u64 v[2:3], v[4:5], 2, v[2:3]
	global_load_dwordx4 v[18:21], v[2:3], off
	v_or_b32_e32 v4, 1, v10
	s_movk_i32 s4, 0x180
	v_mad_u32_u24 v5, v4, s4, v13
	s_waitcnt vmcnt(0)
	v_fma_mixlo_f16 v6, s6, v18, 0
	v_fma_mixlo_f16 v7, s6, v20, 0
	v_mov_b32_e32 v18, v21
	v_and_b32_e32 v9, 0xffff, v6
	v_and_b32_e32 v12, 0xffff, v7
	v_pk_mul_f32 v[6:7], s[6:7], v[18:19]
	s_nop 0
	v_cvt_pk_f16_f32 v6, v6, v7
	v_lshlrev_b32_e32 v7, 16, v6
	v_and_b32_e32 v6, 0xffff0000, v6
	v_or_b32_e32 v6, v6, v9
	v_or3_b32 v7, v7, v12, 0
	v_or3_b32 v6, 0, 0, v6
	ds_write_b64 v5, v[6:7]
	s_and_saveexec_b64 s[8:9], vcc
	s_cbranch_execz .LBB13_6
; %bb.5:
	global_load_dwordx4 v[18:21], v[2:3], off offset:512
	v_mul_u32_u24_e32 v4, 0x180, v4
	v_add_u32_e32 v4, v13, v4
	s_waitcnt vmcnt(0)
	v_fma_mixlo_f16 v2, s6, v18, 0
	v_fma_mixlo_f16 v3, s6, v20, 0
	v_mov_b32_e32 v18, v21
	v_and_b32_e32 v5, 0xffff, v2
	v_and_b32_e32 v6, 0xffff, v3
	v_pk_mul_f32 v[2:3], s[6:7], v[18:19]
	s_nop 0
	v_cvt_pk_f16_f32 v2, v2, v3
	v_lshlrev_b32_e32 v3, 16, v2
	v_and_b32_e32 v2, 0xffff0000, v2
	v_or_b32_e32 v2, v2, v5
	v_or3_b32 v3, v3, v6, 0
	v_or3_b32 v2, 0, 0, v2
	ds_write_b64 v4, v[2:3] offset:256
.LBB13_6:
	s_or_b64 exec, exec, s[8:9]
	s_cmp_eq_u64 s[22:23], 0
	s_waitcnt lgkmcnt(0)
	s_barrier
	s_cbranch_scc1 .LBB13_8
; %bb.7:
	s_load_dword s4, s[0:1], 0xd0
	s_mov_b32 s7, 0
	s_waitcnt lgkmcnt(0)
	s_mul_i32 s4, s4, s33
	s_add_i32 s6, s4, s2
	s_lshl_b64 s[6:7], s[6:7], 2
	s_add_u32 s6, s22, s6
	s_addc_u32 s7, s23, s7
	s_load_dword s34, s[6:7], 0x0
.LBB13_8:
	s_lshl_b32 s2, s3, 5
	s_waitcnt lgkmcnt(0)
	s_cmp_lt_i32 s2, s34
	v_mbcnt_lo_u32_b32 v4, -1, 0
	s_cbranch_scc1 .LBB13_11
; %bb.9:
	v_mbcnt_hi_u32_b32 v2, -1, v4
	v_and_b32_e32 v3, 0x60, v2
	v_add_u32_e32 v9, 32, v3
	v_xor_b32_e32 v21, 16, v2
	v_xor_b32_e32 v20, 8, v2
	;; [unrolled: 1-line block ×5, first 2 shown]
	v_lshlrev_b32_e32 v15, 2, v0
	s_cbranch_execz .LBB13_12
; %bb.10:
	v_mov_b32_e32 v5, 0
	v_mov_b32_e32 v13, 0xfeffffff
	;; [unrolled: 1-line block ×8, first 2 shown]
	s_branch .LBB13_14
.LBB13_11:
                                        ; implicit-def: $vgpr2
                                        ; implicit-def: $vgpr9
                                        ; implicit-def: $vgpr21
                                        ; implicit-def: $vgpr20
                                        ; implicit-def: $vgpr19
                                        ; implicit-def: $vgpr18
                                        ; implicit-def: $vgpr17
	v_lshlrev_b32_e32 v15, 2, v0
.LBB13_12:
	s_load_dwordx2 s[6:7], s[0:1], 0x8c
	s_load_dwordx4 s[8:11], s[0:1], 0x98
	s_sub_i32 s4, 0, s38
	s_mul_i32 s4, s4, s40
	s_mul_hi_u32 s4, s40, s4
	s_waitcnt lgkmcnt(0)
	s_ashr_i32 s23, s6, 2
	s_ashr_i32 s6, s33, 31
	;; [unrolled: 1-line block ×4, first 2 shown]
	s_mul_hi_u32 s5, s8, s33
	s_mul_i32 s29, s8, s6
	s_abs_i32 s18, s35
	s_add_i32 s40, s40, s4
	s_add_i32 s5, s5, s29
	s_mul_i32 s9, s9, s33
	s_mul_hi_u32 s4, s18, s40
	s_ashr_i32 s19, s35, 31
	s_ashr_i32 s28, s39, 31
	s_add_i32 s5, s5, s9
	s_mul_i32 s8, s8, s33
	s_add_u32 s8, s14, s8
	s_mul_i32 s14, s4, s38
	s_addc_u32 s5, s15, s5
	s_sub_i32 s14, s18, s14
	s_xor_b32 s9, s19, s28
	s_add_i32 s15, s4, 1
	s_sub_i32 s18, s14, s38
	s_cmp_ge_u32 s14, s38
	s_cselect_b32 s4, s15, s4
	s_cselect_b32 s14, s18, s14
	s_add_i32 s15, s4, 1
	s_cmp_ge_u32 s14, s38
	s_cselect_b32 s4, s15, s4
	s_load_dwordx2 s[12:13], s[0:1], 0xa8
	s_xor_b32 s4, s4, s9
	s_sub_i32 s9, s4, s9
	s_mul_i32 s4, s9, s7
	s_ashr_i32 s7, s4, 31
	s_add_u32 s4, s8, s4
	s_addc_u32 s5, s5, s7
	s_waitcnt lgkmcnt(0)
	s_mul_hi_u32 s7, s12, s33
	s_mul_i32 s6, s12, s6
	s_add_i32 s6, s7, s6
	s_mul_i32 s7, s13, s33
	v_lshrrev_b32_e32 v2, 3, v0
	s_add_i32 s6, s6, s7
	s_mul_i32 s7, s12, s33
	v_lshl_add_u32 v3, v11, 2, v2
	s_add_u32 s7, s16, s7
	s_mul_i32 s9, s9, s11
	v_mul_lo_u32 v6, s23, v3
	s_addc_u32 s8, s17, s6
	s_ashr_i32 s11, s9, 31
	v_and_b32_e32 v2, 28, v15
	v_ashrrev_i32_e32 v7, 31, v6
	s_add_u32 s6, s7, s9
	v_mul_u32_u24_e32 v5, 0x90, v3
	v_lshlrev_b32_e32 v2, 2, v2
	s_movk_i32 s9, 0x1800
	v_lshl_add_u64 v[6:7], v[6:7], 2, s[4:5]
	v_mov_b32_e32 v3, 0
	s_addc_u32 s7, s8, s11
	s_movk_i32 s8, 0x90
	v_add3_u32 v22, v5, v2, s9
	v_lshl_add_u64 v[6:7], v[6:7], 0, v[2:3]
	v_mov_b32_e32 v2, 0x1800
	v_mad_u32_u24 v23, v0, s8, v2
	v_mov_b32_e32 v2, 0x2a00
	v_lshl_add_u32 v24, v11, 7, v2
	v_lshrrev_b32_e32 v2, 4, v0
	v_add_u32_e32 v5, v2, v10
	v_mul_lo_u32 v10, s22, v5
	v_and_b32_e32 v2, 60, v15
	v_ashrrev_i32_e32 v11, 31, v10
	v_mad_u64_u32 v[8:9], s[4:5], v8, s10, v[0:1]
	v_lshlrev_b32_e32 v2, 2, v2
	v_lshl_add_u64 v[10:11], v[10:11], 2, s[6:7]
	v_lshl_or_b32 v9, v5, 8, v2
	v_lshl_add_u64 v[10:11], v[10:11], 0, v[2:3]
	v_mbcnt_hi_u32_b32 v2, -1, v4
	s_add_u32 s18, s0, 0xd0
	v_mov_b32_e32 v12, 0xfeffffff
	v_and_b32_e32 v4, 0x60, v2
	v_add_u32_e32 v25, 0x1800, v9
	s_addc_u32 s19, s1, 0
	v_add_u32_e32 v9, 32, v4
	v_xor_b32_e32 v21, 16, v2
	v_xor_b32_e32 v20, 8, v2
	;; [unrolled: 1-line block ×5, first 2 shown]
	s_mov_b32 s28, 0x3fb8aa3b
	s_mov_b32 s29, 0xc2ce8ed0
	;; [unrolled: 1-line block ×3, first 2 shown]
	v_mov_b32_e32 v27, 0x7f800000
	s_mov_b32 s39, 0x10001
	v_add_u32_e32 v28, v24, v15
	v_add_u32_e32 v29, 0x1800, v13
	;; [unrolled: 1-line block ×3, first 2 shown]
	v_mov_b32_e32 v26, v3
	v_mov_b32_e32 v32, v3
	;; [unrolled: 1-line block ×6, first 2 shown]
.LBB13_13:                              ; =>This Inner Loop Header: Depth=1
	s_mul_hi_i32 s13, s2, s23
	s_mul_i32 s12, s2, s23
	v_lshl_add_u64 v[50:51], s[12:13], 2, v[6:7]
	global_load_dwordx4 v[38:41], v[50:51], off
	v_mov_b32_e32 v35, 0
	v_mov_b32_e32 v36, 0
	;; [unrolled: 1-line block ×3, first 2 shown]
	v_add_u32_e32 v12, s2, v8
	v_mov_b32_e32 v33, v13
	v_ashrrev_i32_e32 v13, 31, v12
	v_lshl_add_u64 v[12:13], v[12:13], 1, s[36:37]
	s_mul_hi_i32 s15, s2, s22
	s_mul_i32 s14, s2, s22
	v_cmp_lt_i32_e64 s[10:11], v21, v9
	v_max_f32_e32 v56, v34, v34
	v_cmp_lt_i32_e64 s[4:5], v20, v9
	v_cndmask_b32_e64 v37, v2, v21, s[10:11]
	v_lshlrev_b32_e32 v37, 2, v37
	v_cndmask_b32_e64 v52, v2, v20, s[4:5]
	v_cmp_lt_i32_e64 s[6:7], v19, v9
	v_cmp_lt_i32_e64 s[8:9], v18, v9
	v_cmp_lt_i32_e32 vcc, v17, v9
	v_cndmask_b32_e64 v53, v2, v19, s[6:7]
	v_cndmask_b32_e64 v54, v2, v18, s[8:9]
	v_cndmask_b32_e32 v55, v2, v17, vcc
	s_waitcnt vmcnt(0)
	ds_write_b128 v22, v[38:41]
	s_waitcnt lgkmcnt(0)
	s_barrier
	ds_read_b128 v[38:41], v23
	ds_read_b128 v[42:45], v16
	ds_read_b128 v[46:49], v16 offset:384
	s_waitcnt lgkmcnt(1)
	;;#ASMSTART
	v_dot2_f32_f16 v35, v38, v42, v35
	;;#ASMEND
	s_nop 0
	;;#ASMSTART
	v_dot2_f32_f16 v35, v39, v43, v35
	;;#ASMEND
	s_nop 0
	;;#ASMSTART
	v_dot2_f32_f16 v35, v40, v44, v35
	;;#ASMEND
	s_nop 0
	;;#ASMSTART
	v_dot2_f32_f16 v35, v41, v45, v35
	;;#ASMEND
	s_waitcnt lgkmcnt(0)
	;;#ASMSTART
	v_dot2_f32_f16 v36, v38, v46, v36
	;;#ASMEND
	s_nop 0
	;;#ASMSTART
	v_dot2_f32_f16 v36, v39, v47, v36
	;;#ASMEND
	s_nop 0
	;;#ASMSTART
	v_dot2_f32_f16 v36, v40, v48, v36
	;;#ASMEND
	s_nop 0
	;;#ASMSTART
	v_dot2_f32_f16 v36, v41, v49, v36
	;;#ASMEND
	ds_read_b128 v[38:41], v23 offset:16
	ds_read_b128 v[42:45], v16 offset:16
	ds_read_b128 v[46:49], v16 offset:400
	s_waitcnt lgkmcnt(1)
	;;#ASMSTART
	v_dot2_f32_f16 v35, v38, v42, v35
	;;#ASMEND
	s_nop 0
	;;#ASMSTART
	v_dot2_f32_f16 v35, v39, v43, v35
	;;#ASMEND
	s_nop 0
	;;#ASMSTART
	v_dot2_f32_f16 v35, v40, v44, v35
	;;#ASMEND
	s_nop 0
	;;#ASMSTART
	v_dot2_f32_f16 v35, v41, v45, v35
	;;#ASMEND
	s_waitcnt lgkmcnt(0)
	;;#ASMSTART
	v_dot2_f32_f16 v36, v38, v46, v36
	;;#ASMEND
	s_nop 0
	;;#ASMSTART
	v_dot2_f32_f16 v36, v39, v47, v36
	;;#ASMEND
	s_nop 0
	;;#ASMSTART
	v_dot2_f32_f16 v36, v40, v48, v36
	;;#ASMEND
	s_nop 0
	;;#ASMSTART
	v_dot2_f32_f16 v36, v41, v49, v36
	;;#ASMEND
	ds_read_b128 v[38:41], v23 offset:32
	ds_read_b128 v[42:45], v16 offset:32
	;; [unrolled: 35-line block ×7, first 2 shown]
	ds_read_b128 v[46:49], v16 offset:496
	s_waitcnt lgkmcnt(1)
	;;#ASMSTART
	v_dot2_f32_f16 v35, v38, v42, v35
	;;#ASMEND
	s_nop 0
	;;#ASMSTART
	v_dot2_f32_f16 v35, v39, v43, v35
	;;#ASMEND
	s_nop 0
	;; [unrolled: 4-line block ×3, first 2 shown]
	;;#ASMSTART
	v_dot2_f32_f16 v35, v41, v45, v35
	;;#ASMEND
	s_waitcnt lgkmcnt(0)
	;;#ASMSTART
	v_dot2_f32_f16 v36, v38, v46, v36
	;;#ASMEND
	s_nop 0
	;;#ASMSTART
	v_dot2_f32_f16 v36, v39, v47, v36
	;;#ASMEND
	s_nop 0
	;; [unrolled: 4-line block ×3, first 2 shown]
	;;#ASMSTART
	v_dot2_f32_f16 v36, v41, v49, v36
	;;#ASMEND
	s_barrier
	global_load_dwordx4 v[38:41], v[50:51], off offset:128
	s_waitcnt vmcnt(0)
	ds_write_b128 v22, v[38:41]
	s_waitcnt lgkmcnt(0)
	s_barrier
	ds_read_b128 v[38:41], v23
	ds_read_b128 v[42:45], v16 offset:128
	ds_read_b128 v[46:49], v16 offset:512
	s_waitcnt lgkmcnt(1)
	;;#ASMSTART
	v_dot2_f32_f16 v35, v38, v42, v35
	;;#ASMEND
	s_nop 0
	;;#ASMSTART
	v_dot2_f32_f16 v35, v39, v43, v35
	;;#ASMEND
	s_nop 0
	;;#ASMSTART
	v_dot2_f32_f16 v35, v40, v44, v35
	;;#ASMEND
	s_nop 0
	;;#ASMSTART
	v_dot2_f32_f16 v35, v41, v45, v35
	;;#ASMEND
	s_waitcnt lgkmcnt(0)
	;;#ASMSTART
	v_dot2_f32_f16 v36, v38, v46, v36
	;;#ASMEND
	s_nop 0
	;;#ASMSTART
	v_dot2_f32_f16 v36, v39, v47, v36
	;;#ASMEND
	s_nop 0
	;;#ASMSTART
	v_dot2_f32_f16 v36, v40, v48, v36
	;;#ASMEND
	s_nop 0
	;;#ASMSTART
	v_dot2_f32_f16 v36, v41, v49, v36
	;;#ASMEND
	ds_read_b128 v[38:41], v23 offset:16
	ds_read_b128 v[42:45], v16 offset:144
	ds_read_b128 v[46:49], v16 offset:528
	s_waitcnt lgkmcnt(1)
	;;#ASMSTART
	v_dot2_f32_f16 v35, v38, v42, v35
	;;#ASMEND
	s_nop 0
	;;#ASMSTART
	v_dot2_f32_f16 v35, v39, v43, v35
	;;#ASMEND
	s_nop 0
	;;#ASMSTART
	v_dot2_f32_f16 v35, v40, v44, v35
	;;#ASMEND
	s_nop 0
	;;#ASMSTART
	v_dot2_f32_f16 v35, v41, v45, v35
	;;#ASMEND
	s_waitcnt lgkmcnt(0)
	;;#ASMSTART
	v_dot2_f32_f16 v36, v38, v46, v36
	;;#ASMEND
	s_nop 0
	;;#ASMSTART
	v_dot2_f32_f16 v36, v39, v47, v36
	;;#ASMEND
	s_nop 0
	;;#ASMSTART
	v_dot2_f32_f16 v36, v40, v48, v36
	;;#ASMEND
	s_nop 0
	;;#ASMSTART
	v_dot2_f32_f16 v36, v41, v49, v36
	;;#ASMEND
	ds_read_b128 v[38:41], v23 offset:32
	;; [unrolled: 35-line block ×7, first 2 shown]
	ds_read_b128 v[42:45], v16 offset:240
	ds_read_b128 v[46:49], v16 offset:624
	s_waitcnt lgkmcnt(1)
	;;#ASMSTART
	v_dot2_f32_f16 v35, v38, v42, v35
	;;#ASMEND
	s_nop 0
	;;#ASMSTART
	v_dot2_f32_f16 v35, v39, v43, v35
	;;#ASMEND
	s_nop 0
	;; [unrolled: 4-line block ×3, first 2 shown]
	;;#ASMSTART
	v_dot2_f32_f16 v35, v41, v45, v35
	;;#ASMEND
	s_waitcnt lgkmcnt(0)
	;;#ASMSTART
	v_dot2_f32_f16 v36, v38, v46, v36
	;;#ASMEND
	s_nop 0
	;;#ASMSTART
	v_dot2_f32_f16 v36, v39, v47, v36
	;;#ASMEND
	s_nop 0
	;; [unrolled: 4-line block ×3, first 2 shown]
	;;#ASMSTART
	v_dot2_f32_f16 v36, v41, v49, v36
	;;#ASMEND
	s_barrier
	global_load_dwordx4 v[38:41], v[50:51], off offset:256
	v_lshlrev_b32_e32 v50, 2, v53
	v_lshlrev_b32_e32 v51, 2, v54
	s_waitcnt vmcnt(0)
	ds_write_b128 v22, v[38:41]
	s_waitcnt lgkmcnt(0)
	s_barrier
	ds_read_b128 v[38:41], v23
	ds_read_b128 v[42:45], v16 offset:256
	ds_read_b128 v[46:49], v16 offset:640
	s_waitcnt lgkmcnt(1)
	;;#ASMSTART
	v_dot2_f32_f16 v35, v38, v42, v35
	;;#ASMEND
	s_nop 0
	;;#ASMSTART
	v_dot2_f32_f16 v35, v39, v43, v35
	;;#ASMEND
	s_nop 0
	;;#ASMSTART
	v_dot2_f32_f16 v35, v40, v44, v35
	;;#ASMEND
	s_nop 0
	;;#ASMSTART
	v_dot2_f32_f16 v35, v41, v45, v35
	;;#ASMEND
	s_waitcnt lgkmcnt(0)
	;;#ASMSTART
	v_dot2_f32_f16 v36, v38, v46, v36
	;;#ASMEND
	s_nop 0
	;;#ASMSTART
	v_dot2_f32_f16 v36, v39, v47, v36
	;;#ASMEND
	s_nop 0
	;;#ASMSTART
	v_dot2_f32_f16 v36, v40, v48, v36
	;;#ASMEND
	s_nop 0
	;;#ASMSTART
	v_dot2_f32_f16 v36, v41, v49, v36
	;;#ASMEND
	ds_read_b128 v[38:41], v23 offset:16
	ds_read_b128 v[42:45], v16 offset:272
	ds_read_b128 v[46:49], v16 offset:656
	s_waitcnt lgkmcnt(1)
	;;#ASMSTART
	v_dot2_f32_f16 v35, v38, v42, v35
	;;#ASMEND
	s_nop 0
	;;#ASMSTART
	v_dot2_f32_f16 v35, v39, v43, v35
	;;#ASMEND
	s_nop 0
	;;#ASMSTART
	v_dot2_f32_f16 v35, v40, v44, v35
	;;#ASMEND
	s_nop 0
	;;#ASMSTART
	v_dot2_f32_f16 v35, v41, v45, v35
	;;#ASMEND
	s_waitcnt lgkmcnt(0)
	;;#ASMSTART
	v_dot2_f32_f16 v36, v38, v46, v36
	;;#ASMEND
	s_nop 0
	;;#ASMSTART
	v_dot2_f32_f16 v36, v39, v47, v36
	;;#ASMEND
	s_nop 0
	;;#ASMSTART
	v_dot2_f32_f16 v36, v40, v48, v36
	;;#ASMEND
	s_nop 0
	;;#ASMSTART
	v_dot2_f32_f16 v36, v41, v49, v36
	;;#ASMEND
	ds_read_b128 v[38:41], v23 offset:32
	;; [unrolled: 35-line block ×7, first 2 shown]
	ds_read_b128 v[42:45], v16 offset:368
	ds_read_b128 v[46:49], v16 offset:752
	s_waitcnt lgkmcnt(1)
	;;#ASMSTART
	v_dot2_f32_f16 v35, v38, v42, v35
	;;#ASMEND
	s_nop 0
	;;#ASMSTART
	v_dot2_f32_f16 v35, v39, v43, v35
	;;#ASMEND
	v_lshl_add_u64 v[42:43], s[14:15], 2, v[10:11]
	;;#ASMSTART
	v_dot2_f32_f16 v35, v40, v44, v35
	;;#ASMEND
	v_max_f32_e32 v44, v33, v33
	;;#ASMSTART
	v_dot2_f32_f16 v35, v41, v45, v35
	;;#ASMEND
	s_waitcnt lgkmcnt(0)
	;;#ASMSTART
	v_dot2_f32_f16 v36, v38, v46, v36
	;;#ASMEND
	v_lshlrev_b32_e32 v45, 2, v52
	;;#ASMSTART
	v_dot2_f32_f16 v36, v39, v47, v36
	;;#ASMEND
	v_lshlrev_b32_e32 v52, 2, v55
	;;#ASMSTART
	v_dot2_f32_f16 v36, v40, v48, v36
	;;#ASMEND
	s_nop 0
	;;#ASMSTART
	v_dot2_f32_f16 v36, v41, v49, v36
	;;#ASMEND
	global_load_ushort v12, v[12:13], off
	s_barrier
	global_load_dwordx4 v[38:41], v[42:43], off
	s_waitcnt vmcnt(1)
	v_cvt_f32_f16_e32 v12, v12
	v_add_f32_e32 v35, v35, v12
	v_add_f32_e32 v36, v36, v12
	;; [unrolled: 1-line block ×4, first 2 shown]
	v_max_f32_e32 v12, v56, v12
	v_max_f32_e32 v13, v44, v13
	ds_bpermute_b32 v42, v37, v12
	ds_bpermute_b32 v37, v37, v13
	s_waitcnt lgkmcnt(1)
	v_max_f32_e32 v42, v42, v42
	s_waitcnt lgkmcnt(0)
	v_max_f32_e32 v37, v37, v37
	v_max_f32_e32 v12, v12, v42
	v_max_f32_e32 v13, v13, v37
	ds_bpermute_b32 v37, v45, v12
	ds_bpermute_b32 v42, v45, v13
	s_waitcnt lgkmcnt(1)
	v_max_f32_e32 v37, v37, v37
	s_waitcnt lgkmcnt(0)
	v_max_f32_e32 v42, v42, v42
	;; [unrolled: 8-line block ×5, first 2 shown]
	v_max_f32_e32 v12, v12, v37
	v_max_f32_e32 v13, v13, v42
	v_sub_f32_e32 v34, v34, v12
	v_sub_f32_e32 v35, v35, v12
	;; [unrolled: 1-line block ×4, first 2 shown]
	v_mul_f32_e32 v37, 0x3fb8aa3b, v34
	v_mul_f32_e32 v42, 0x3fb8aa3b, v35
	;; [unrolled: 1-line block ×4, first 2 shown]
	v_fma_f32 v45, v34, s28, -v37
	v_rndne_f32_e32 v46, v37
	v_fma_f32 v47, v35, s28, -v42
	v_rndne_f32_e32 v48, v42
	;; [unrolled: 2-line block ×4, first 2 shown]
	v_cmp_ngt_f32_e32 vcc, s29, v35
	v_cmp_ngt_f32_e64 s[4:5], s29, v33
	v_cmp_ngt_f32_e64 s[6:7], s29, v36
	;; [unrolled: 1-line block ×3, first 2 shown]
	v_cmp_nlt_f32_e64 s[10:11], s38, v35
	v_cmp_nlt_f32_e64 s[12:13], s38, v33
	;; [unrolled: 1-line block ×4, first 2 shown]
	v_fmac_f32_e32 v45, 0x32a5705f, v34
	v_sub_f32_e32 v34, v37, v46
	v_fmac_f32_e32 v47, 0x32a5705f, v35
	v_sub_f32_e32 v35, v42, v48
	;; [unrolled: 2-line block ×4, first 2 shown]
	v_add_f32_e32 v34, v34, v45
	v_add_f32_e32 v35, v35, v47
	;; [unrolled: 1-line block ×4, first 2 shown]
	v_cvt_i32_f32_e32 v37, v46
	v_cvt_i32_f32_e32 v42, v48
	;; [unrolled: 1-line block ×4, first 2 shown]
	v_exp_f32_e32 v34, v34
	v_exp_f32_e32 v35, v35
	;; [unrolled: 1-line block ×4, first 2 shown]
	v_ldexp_f32 v34, v34, v37
	v_ldexp_f32 v35, v35, v42
	v_ldexp_f32 v33, v33, v43
	v_ldexp_f32 v36, v36, v44
	v_cndmask_b32_e64 v34, 0, v34, s[8:9]
	v_cndmask_b32_e32 v35, 0, v35, vcc
	v_cndmask_b32_e64 v33, 0, v33, s[4:5]
	v_cndmask_b32_e64 v37, 0, v36, s[6:7]
	;; [unrolled: 1-line block ×6, first 2 shown]
	v_cvt_f16_f32_e32 v33, v34
	v_pk_fma_f32 v[4:5], v[4:5], v[34:35], v[36:37]
	v_cvt_pk_f16_f32 v34, v36, v37
	v_cvt_f16_f32_e32 v42, v35
	ds_write_b32 v28, v34
	s_waitcnt vmcnt(0)
	ds_write_b128 v25, v[38:41]
	s_waitcnt lgkmcnt(0)
	s_barrier
	ds_read_b128 v[34:37], v24
	ds_read_b128 v[38:41], v24 offset:16
	v_mul_u32_u24_e32 v33, 0x10001, v33
	v_pk_mul_f16 v32, v32, v33
	s_or_b32 s4, s2, 16
	s_waitcnt lgkmcnt(1)
	v_mul_u32_u24_sdwa v43, v34, s39 dst_sel:DWORD dst_unused:UNUSED_PAD src0_sel:WORD_0 src1_sel:DWORD
	v_mul_u32_u24_sdwa v44, v34, s39 dst_sel:DWORD dst_unused:UNUSED_PAD src0_sel:WORD_1 src1_sel:DWORD
	v_mul_u32_u24_sdwa v45, v35, s39 dst_sel:DWORD dst_unused:UNUSED_PAD src0_sel:WORD_0 src1_sel:DWORD
	v_mul_u32_u24_sdwa v46, v35, s39 dst_sel:DWORD dst_unused:UNUSED_PAD src0_sel:WORD_1 src1_sel:DWORD
	;; [unrolled: 2-line block ×4, first 2 shown]
	ds_read2_b64 v[34:37], v29 offset1:32
	s_waitcnt lgkmcnt(1)
	v_mul_u32_u24_sdwa v51, v38, s39 dst_sel:DWORD dst_unused:UNUSED_PAD src0_sel:WORD_0 src1_sel:DWORD
	v_mul_u32_u24_sdwa v52, v38, s39 dst_sel:DWORD dst_unused:UNUSED_PAD src0_sel:WORD_1 src1_sel:DWORD
	v_mul_u32_u24_e32 v38, 0x10001, v42
	v_mul_u32_u24_sdwa v53, v39, s39 dst_sel:DWORD dst_unused:UNUSED_PAD src0_sel:WORD_0 src1_sel:DWORD
	v_mul_u32_u24_sdwa v54, v39, s39 dst_sel:DWORD dst_unused:UNUSED_PAD src0_sel:WORD_1 src1_sel:DWORD
	v_pk_mul_f16 v3, v3, v38
	s_waitcnt lgkmcnt(0)
	v_pk_mul_f16 v39, v34, v43
	v_pk_fma_f16 v32, v35, v43, v32
	v_pk_mul_f16 v34, v34, v44
	v_pk_fma_f16 v31, v31, v33, v39
	v_pk_fma_f16 v26, v26, v38, v34
	;; [unrolled: 1-line block ×4, first 2 shown]
	ds_read2_b64 v[32:35], v29 offset0:64 offset1:96
	v_pk_fma_f16 v31, v36, v45, v31
	v_pk_fma_f16 v3, v37, v46, v3
	;; [unrolled: 1-line block ×3, first 2 shown]
	v_mul_u32_u24_sdwa v55, v40, s39 dst_sel:DWORD dst_unused:UNUSED_PAD src0_sel:WORD_0 src1_sel:DWORD
	s_waitcnt lgkmcnt(0)
	v_pk_fma_f16 v36, v33, v47, v42
	v_pk_fma_f16 v31, v32, v47, v31
	;; [unrolled: 1-line block ×8, first 2 shown]
	ds_read2_b64 v[32:35], v29 offset0:128 offset1:160
	v_mul_u32_u24_sdwa v56, v40, s39 dst_sel:DWORD dst_unused:UNUSED_PAD src0_sel:WORD_1 src1_sel:DWORD
	v_mul_u32_u24_sdwa v57, v41, s39 dst_sel:DWORD dst_unused:UNUSED_PAD src0_sel:WORD_0 src1_sel:DWORD
	v_mul_u32_u24_sdwa v58, v41, s39 dst_sel:DWORD dst_unused:UNUSED_PAD src0_sel:WORD_1 src1_sel:DWORD
	ds_read_b128 v[38:41], v24 offset:32
	s_waitcnt lgkmcnt(1)
	v_pk_fma_f16 v36, v33, v51, v36
	v_pk_fma_f16 v3, v33, v52, v3
	;; [unrolled: 1-line block ×4, first 2 shown]
	s_waitcnt lgkmcnt(0)
	v_mul_u32_u24_sdwa v44, v38, s39 dst_sel:DWORD dst_unused:UNUSED_PAD src0_sel:WORD_0 src1_sel:DWORD
	v_mul_u32_u24_sdwa v45, v38, s39 dst_sel:DWORD dst_unused:UNUSED_PAD src0_sel:WORD_1 src1_sel:DWORD
	v_mul_u32_u24_sdwa v46, v39, s39 dst_sel:DWORD dst_unused:UNUSED_PAD src0_sel:WORD_0 src1_sel:DWORD
	v_mul_u32_u24_sdwa v59, v39, s39 dst_sel:DWORD dst_unused:UNUSED_PAD src0_sel:WORD_1 src1_sel:DWORD
	v_mul_u32_u24_sdwa v60, v40, s39 dst_sel:DWORD dst_unused:UNUSED_PAD src0_sel:WORD_0 src1_sel:DWORD
	v_mul_u32_u24_sdwa v61, v40, s39 dst_sel:DWORD dst_unused:UNUSED_PAD src0_sel:WORD_1 src1_sel:DWORD
	v_pk_fma_f16 v40, v35, v53, v36
	ds_read2_b64 v[36:39], v29 offset0:192 offset1:224
	v_pk_fma_f16 v31, v34, v53, v31
	v_pk_fma_f16 v3, v35, v54, v3
	;; [unrolled: 1-line block ×3, first 2 shown]
	ds_read2_b64 v[32:35], v30 offset1:32
	s_waitcnt lgkmcnt(1)
	v_pk_fma_f16 v40, v37, v55, v40
	v_pk_fma_f16 v3, v37, v56, v3
	v_pk_fma_f16 v31, v36, v55, v31
	v_pk_fma_f16 v26, v36, v56, v26
	v_pk_fma_f16 v47, v39, v57, v40
	v_pk_fma_f16 v31, v38, v57, v31
	v_pk_fma_f16 v3, v39, v58, v3
	v_pk_fma_f16 v26, v38, v58, v26
	ds_read2_b64 v[36:39], v30 offset0:64 offset1:96
	s_mul_hi_i32 s5, s4, s22
	s_mul_i32 s4, s4, s22
	s_waitcnt lgkmcnt(1)
	v_pk_fma_f16 v47, v33, v44, v47
	v_lshl_add_u64 v[48:49], s[4:5], 2, v[10:11]
	v_pk_fma_f16 v3, v33, v45, v3
	v_pk_fma_f16 v31, v32, v44, v31
	;; [unrolled: 1-line block ×4, first 2 shown]
	v_mul_u32_u24_sdwa v62, v41, s39 dst_sel:DWORD dst_unused:UNUSED_PAD src0_sel:WORD_0 src1_sel:DWORD
	v_mul_u32_u24_sdwa v63, v41, s39 dst_sel:DWORD dst_unused:UNUSED_PAD src0_sel:WORD_1 src1_sel:DWORD
	ds_read_b128 v[40:43], v24 offset:48
	v_pk_fma_f16 v31, v34, v46, v31
	ds_read2_b64 v[44:47], v30 offset0:128 offset1:160
	v_pk_fma_f16 v3, v35, v59, v3
	v_pk_fma_f16 v26, v34, v59, v26
	ds_read2_b64 v[32:35], v30 offset0:192 offset1:224
	s_waitcnt lgkmcnt(0)
	s_barrier
	v_pk_fma_f16 v52, v37, v60, v50
	global_load_dwordx4 v[48:51], v[48:49], off
	v_pk_fma_f16 v31, v36, v60, v31
	v_pk_fma_f16 v3, v37, v61, v3
	;; [unrolled: 1-line block ×3, first 2 shown]
	v_mul_u32_u24_sdwa v36, v40, s39 dst_sel:DWORD dst_unused:UNUSED_PAD src0_sel:WORD_0 src1_sel:DWORD
	v_pk_fma_f16 v37, v39, v62, v52
	v_pk_fma_f16 v31, v38, v62, v31
	v_mul_u32_u24_sdwa v40, v40, s39 dst_sel:DWORD dst_unused:UNUSED_PAD src0_sel:WORD_1 src1_sel:DWORD
	v_pk_fma_f16 v3, v39, v63, v3
	v_pk_fma_f16 v26, v38, v63, v26
	v_mul_u32_u24_sdwa v38, v41, s39 dst_sel:DWORD dst_unused:UNUSED_PAD src0_sel:WORD_0 src1_sel:DWORD
	v_mul_u32_u24_sdwa v39, v41, s39 dst_sel:DWORD dst_unused:UNUSED_PAD src0_sel:WORD_1 src1_sel:DWORD
	v_pk_fma_f16 v37, v45, v36, v37
	v_pk_fma_f16 v3, v45, v40, v3
	v_pk_fma_f16 v31, v44, v36, v31
	v_pk_fma_f16 v26, v44, v40, v26
	v_mul_u32_u24_sdwa v41, v42, s39 dst_sel:DWORD dst_unused:UNUSED_PAD src0_sel:WORD_0 src1_sel:DWORD
	v_mul_u32_u24_sdwa v42, v42, s39 dst_sel:DWORD dst_unused:UNUSED_PAD src0_sel:WORD_1 src1_sel:DWORD
	v_pk_fma_f16 v36, v47, v38, v37
	v_pk_fma_f16 v3, v47, v39, v3
	;; [unrolled: 6-line block ×3, first 2 shown]
	v_pk_fma_f16 v31, v32, v41, v31
	v_pk_fma_f16 v26, v32, v42, v26
	;; [unrolled: 1-line block ×6, first 2 shown]
	s_waitcnt vmcnt(0)
	ds_write_b128 v25, v[48:51]
	s_waitcnt lgkmcnt(0)
	s_barrier
	ds_read_b128 v[32:35], v24 offset:64
	ds_read_b128 v[36:39], v24 offset:80
	;; [unrolled: 1-line block ×3, first 2 shown]
	ds_read2_b64 v[44:47], v29 offset1:32
	ds_read_b128 v[48:51], v24 offset:112
	s_waitcnt lgkmcnt(4)
	v_mul_u32_u24_sdwa v52, v32, s39 dst_sel:DWORD dst_unused:UNUSED_PAD src0_sel:WORD_0 src1_sel:DWORD
	v_mul_u32_u24_sdwa v32, v32, s39 dst_sel:DWORD dst_unused:UNUSED_PAD src0_sel:WORD_1 src1_sel:DWORD
	v_mul_u32_u24_sdwa v54, v33, s39 dst_sel:DWORD dst_unused:UNUSED_PAD src0_sel:WORD_0 src1_sel:DWORD
	s_waitcnt lgkmcnt(1)
	v_pk_fma_f16 v31, v44, v52, v31
	v_pk_fma_f16 v52, v45, v52, v53
	v_mul_u32_u24_sdwa v33, v33, s39 dst_sel:DWORD dst_unused:UNUSED_PAD src0_sel:WORD_1 src1_sel:DWORD
	v_pk_fma_f16 v26, v44, v32, v26
	v_pk_fma_f16 v3, v45, v32, v3
	;; [unrolled: 1-line block ×6, first 2 shown]
	ds_read2_b64 v[44:47], v29 offset0:64 offset1:96
	v_mul_u32_u24_sdwa v33, v34, s39 dst_sel:DWORD dst_unused:UNUSED_PAD src0_sel:WORD_0 src1_sel:DWORD
	v_mul_u32_u24_sdwa v52, v34, s39 dst_sel:DWORD dst_unused:UNUSED_PAD src0_sel:WORD_1 src1_sel:DWORD
	v_mul_u32_u24_sdwa v53, v35, s39 dst_sel:DWORD dst_unused:UNUSED_PAD src0_sel:WORD_0 src1_sel:DWORD
	v_mul_u32_u24_sdwa v54, v35, s39 dst_sel:DWORD dst_unused:UNUSED_PAD src0_sel:WORD_1 src1_sel:DWORD
	s_waitcnt lgkmcnt(0)
	v_pk_fma_f16 v31, v44, v33, v31
	v_pk_fma_f16 v55, v45, v33, v32
	ds_read2_b64 v[32:35], v29 offset0:128 offset1:160
	v_pk_fma_f16 v26, v44, v52, v26
	v_pk_fma_f16 v3, v45, v52, v3
	;; [unrolled: 1-line block ×6, first 2 shown]
	ds_read2_b64 v[44:47], v29 offset0:192 offset1:224
	v_mul_u32_u24_sdwa v53, v36, s39 dst_sel:DWORD dst_unused:UNUSED_PAD src0_sel:WORD_0 src1_sel:DWORD
	v_mul_u32_u24_sdwa v36, v36, s39 dst_sel:DWORD dst_unused:UNUSED_PAD src0_sel:WORD_1 src1_sel:DWORD
	v_mul_u32_u24_sdwa v54, v37, s39 dst_sel:DWORD dst_unused:UNUSED_PAD src0_sel:WORD_0 src1_sel:DWORD
	s_waitcnt lgkmcnt(1)
	v_pk_fma_f16 v31, v32, v53, v31
	v_pk_fma_f16 v52, v33, v53, v52
	v_mul_u32_u24_sdwa v37, v37, s39 dst_sel:DWORD dst_unused:UNUSED_PAD src0_sel:WORD_1 src1_sel:DWORD
	v_pk_fma_f16 v26, v32, v36, v26
	v_pk_fma_f16 v3, v33, v36, v3
	;; [unrolled: 1-line block ×6, first 2 shown]
	ds_read2_b64 v[32:35], v30 offset1:32
	v_mul_u32_u24_sdwa v37, v38, s39 dst_sel:DWORD dst_unused:UNUSED_PAD src0_sel:WORD_0 src1_sel:DWORD
	v_mul_u32_u24_sdwa v52, v38, s39 dst_sel:DWORD dst_unused:UNUSED_PAD src0_sel:WORD_1 src1_sel:DWORD
	v_mul_u32_u24_sdwa v53, v39, s39 dst_sel:DWORD dst_unused:UNUSED_PAD src0_sel:WORD_0 src1_sel:DWORD
	v_mul_u32_u24_sdwa v54, v39, s39 dst_sel:DWORD dst_unused:UNUSED_PAD src0_sel:WORD_1 src1_sel:DWORD
	s_waitcnt lgkmcnt(1)
	v_pk_fma_f16 v31, v44, v37, v31
	v_pk_fma_f16 v55, v45, v37, v36
	ds_read2_b64 v[36:39], v30 offset0:64 offset1:96
	v_pk_fma_f16 v26, v44, v52, v26
	v_pk_fma_f16 v3, v45, v52, v3
	v_mul_u32_u24_sdwa v44, v40, s39 dst_sel:DWORD dst_unused:UNUSED_PAD src0_sel:WORD_0 src1_sel:DWORD
	v_pk_fma_f16 v31, v46, v53, v31
	v_pk_fma_f16 v45, v47, v53, v55
	v_mul_u32_u24_sdwa v52, v40, s39 dst_sel:DWORD dst_unused:UNUSED_PAD src0_sel:WORD_1 src1_sel:DWORD
	v_pk_fma_f16 v26, v46, v54, v26
	v_pk_fma_f16 v3, v47, v54, v3
	v_mul_u32_u24_sdwa v46, v41, s39 dst_sel:DWORD dst_unused:UNUSED_PAD src0_sel:WORD_0 src1_sel:DWORD
	s_waitcnt lgkmcnt(1)
	v_pk_fma_f16 v31, v32, v44, v31
	v_pk_fma_f16 v44, v33, v44, v45
	v_mul_u32_u24_sdwa v47, v41, s39 dst_sel:DWORD dst_unused:UNUSED_PAD src0_sel:WORD_1 src1_sel:DWORD
	v_mul_u32_u24_sdwa v53, v42, s39 dst_sel:DWORD dst_unused:UNUSED_PAD src0_sel:WORD_0 src1_sel:DWORD
	v_mul_u32_u24_sdwa v54, v42, s39 dst_sel:DWORD dst_unused:UNUSED_PAD src0_sel:WORD_1 src1_sel:DWORD
	v_mul_u32_u24_sdwa v55, v43, s39 dst_sel:DWORD dst_unused:UNUSED_PAD src0_sel:WORD_0 src1_sel:DWORD
	v_mul_u32_u24_sdwa v56, v43, s39 dst_sel:DWORD dst_unused:UNUSED_PAD src0_sel:WORD_1 src1_sel:DWORD
	ds_read2_b64 v[40:43], v30 offset0:128 offset1:160
	v_pk_fma_f16 v26, v32, v52, v26
	v_pk_fma_f16 v3, v33, v52, v3
	;; [unrolled: 1-line block ×6, first 2 shown]
	s_waitcnt lgkmcnt(1)
	v_pk_fma_f16 v52, v37, v53, v32
	ds_read2_b64 v[32:35], v30 offset0:192 offset1:224
	s_waitcnt lgkmcnt(0)
	s_barrier
	s_load_dword s4, s[18:19], 0x4
	v_pk_fma_f16 v31, v36, v53, v31
	v_pk_fma_f16 v26, v36, v54, v26
	;; [unrolled: 1-line block ×3, first 2 shown]
	v_mul_u32_u24_sdwa v45, v48, s39 dst_sel:DWORD dst_unused:UNUSED_PAD src0_sel:WORD_0 src1_sel:DWORD
	v_mul_u32_u24_sdwa v44, v48, s39 dst_sel:DWORD dst_unused:UNUSED_PAD src0_sel:WORD_1 src1_sel:DWORD
	v_pk_fma_f16 v31, v38, v55, v31
	v_pk_fma_f16 v26, v38, v56, v26
	;; [unrolled: 1-line block ×4, first 2 shown]
	v_mul_u32_u24_sdwa v46, v49, s39 dst_sel:DWORD dst_unused:UNUSED_PAD src0_sel:WORD_0 src1_sel:DWORD
	v_mul_u32_u24_sdwa v47, v49, s39 dst_sel:DWORD dst_unused:UNUSED_PAD src0_sel:WORD_1 src1_sel:DWORD
	v_pk_fma_f16 v31, v40, v45, v31
	v_pk_fma_f16 v26, v40, v44, v26
	v_pk_fma_f16 v36, v41, v45, v36
	v_pk_fma_f16 v3, v41, v44, v3
	v_mul_u32_u24_sdwa v48, v50, s39 dst_sel:DWORD dst_unused:UNUSED_PAD src0_sel:WORD_0 src1_sel:DWORD
	v_mul_u32_u24_sdwa v49, v50, s39 dst_sel:DWORD dst_unused:UNUSED_PAD src0_sel:WORD_1 src1_sel:DWORD
	s_waitcnt lgkmcnt(0)
	s_lshl_b32 s4, s4, 5
	v_pk_fma_f16 v31, v42, v46, v31
	v_pk_fma_f16 v26, v42, v47, v26
	;; [unrolled: 1-line block ×4, first 2 shown]
	v_mul_u32_u24_sdwa v50, v51, s39 dst_sel:DWORD dst_unused:UNUSED_PAD src0_sel:WORD_0 src1_sel:DWORD
	v_mul_u32_u24_sdwa v51, v51, s39 dst_sel:DWORD dst_unused:UNUSED_PAD src0_sel:WORD_1 src1_sel:DWORD
	s_add_i32 s2, s4, s2
	v_pk_fma_f16 v31, v32, v48, v31
	v_pk_fma_f16 v26, v32, v49, v26
	;; [unrolled: 1-line block ×4, first 2 shown]
	s_cmp_ge_i32 s2, s34
	v_pk_fma_f16 v31, v34, v50, v31
	v_pk_fma_f16 v26, v34, v51, v26
	;; [unrolled: 1-line block ×4, first 2 shown]
	s_cbranch_scc0 .LBB13_13
.LBB13_14:
	v_cmp_lt_i32_e32 vcc, v21, v9
	s_cmp_lg_u64 s[20:21], 0
	s_cselect_b64 s[4:5], -1, 0
	v_cndmask_b32_e32 v6, v2, v21, vcc
	v_lshlrev_b32_e32 v7, 2, v6
	ds_bpermute_b32 v6, v7, v4
	ds_bpermute_b32 v7, v7, v5
	v_cmp_lt_i32_e32 vcc, v20, v9
	s_cmp_eq_u32 s3, 0
	s_cselect_b64 s[6:7], -1, 0
	v_cndmask_b32_e32 v8, v2, v20, vcc
	v_lshlrev_b32_e32 v8, 2, v8
	s_waitcnt lgkmcnt(0)
	v_pk_add_f32 v[4:5], v[4:5], v[6:7]
	ds_bpermute_b32 v6, v8, v4
	ds_bpermute_b32 v7, v8, v5
	v_cmp_lt_i32_e32 vcc, v19, v9
	s_and_b64 s[4:5], s[6:7], s[4:5]
	s_waitcnt lgkmcnt(0)
	v_pk_add_f32 v[4:5], v[4:5], v[6:7]
	v_cndmask_b32_e32 v8, v2, v19, vcc
	v_lshlrev_b32_e32 v8, 2, v8
	ds_bpermute_b32 v6, v8, v4
	ds_bpermute_b32 v7, v8, v5
	v_cmp_lt_i32_e32 vcc, v18, v9
	s_waitcnt lgkmcnt(0)
	v_pk_add_f32 v[4:5], v[4:5], v[6:7]
	v_cndmask_b32_e32 v8, v2, v18, vcc
	v_lshlrev_b32_e32 v8, 2, v8
	ds_bpermute_b32 v6, v8, v4
	ds_bpermute_b32 v7, v8, v5
	v_cmp_lt_i32_e32 vcc, v17, v9
	s_waitcnt lgkmcnt(0)
	v_pk_add_f32 v[4:5], v[4:5], v[6:7]
	v_cndmask_b32_e32 v2, v2, v17, vcc
	v_lshlrev_b32_e32 v2, 2, v2
	ds_bpermute_b32 v6, v2, v4
	ds_bpermute_b32 v7, v2, v5
	s_and_b64 vcc, exec, s[4:5]
	s_waitcnt lgkmcnt(0)
	v_pk_add_f32 v[4:5], v[4:5], v[6:7]
	s_cbranch_vccz .LBB13_16
; %bb.15:
	v_add_u32_e32 v6, s35, v14
	v_ashrrev_i32_e32 v7, 31, v6
	v_lshl_add_u64 v[6:7], v[6:7], 2, s[20:21]
	global_load_dwordx2 v[6:7], v[6:7], off
	v_max_f32_e32 v2, v12, v12
	v_max_f32_e32 v9, v13, v13
	s_mov_b32 s2, 0x3fb8aa3b
	s_mov_b32 s4, 0xc2ce8ed0
	;; [unrolled: 1-line block ×3, first 2 shown]
	v_mov_b32_e32 v11, 0x7f800000
	s_waitcnt vmcnt(0)
	v_max_f32_e32 v8, v6, v6
	v_max_f32_e32 v8, v2, v8
	;; [unrolled: 1-line block ×3, first 2 shown]
	v_sub_f32_e32 v2, v12, v8
	v_max_f32_e32 v9, v9, v10
	v_sub_f32_e32 v10, v6, v8
	v_mul_f32_e32 v6, 0x3fb8aa3b, v2
	v_sub_f32_e32 v12, v13, v9
	v_sub_f32_e32 v13, v7, v9
	v_mul_f32_e32 v7, 0x3fb8aa3b, v10
	v_fma_f32 v18, v2, s2, -v6
	v_rndne_f32_e32 v19, v6
	v_mul_f32_e32 v16, 0x3fb8aa3b, v12
	v_fma_f32 v20, v10, s2, -v7
	v_rndne_f32_e32 v21, v7
	v_fmac_f32_e32 v18, 0x32a5705f, v2
	v_sub_f32_e32 v6, v6, v19
	v_mul_f32_e32 v17, 0x3fb8aa3b, v13
	v_fma_f32 v22, v12, s2, -v16
	v_rndne_f32_e32 v23, v16
	v_fmac_f32_e32 v20, 0x32a5705f, v10
	v_sub_f32_e32 v7, v7, v21
	v_add_f32_e32 v6, v6, v18
	v_fma_f32 v24, v13, s2, -v17
	v_rndne_f32_e32 v25, v17
	v_cvt_i32_f32_e32 v19, v19
	v_fmac_f32_e32 v22, 0x32a5705f, v12
	v_sub_f32_e32 v16, v16, v23
	v_add_f32_e32 v7, v7, v20
	v_exp_f32_e32 v6, v6
	v_cvt_i32_f32_e32 v21, v21
	v_fmac_f32_e32 v24, 0x32a5705f, v13
	v_sub_f32_e32 v17, v17, v25
	v_add_f32_e32 v16, v16, v22
	v_exp_f32_e32 v7, v7
	v_cvt_i32_f32_e32 v23, v23
	v_add_f32_e32 v17, v17, v24
	v_exp_f32_e32 v16, v16
	v_cvt_i32_f32_e32 v25, v25
	v_exp_f32_e32 v17, v17
	v_ldexp_f32 v6, v6, v19
	v_cmp_ngt_f32_e32 vcc, s4, v2
	v_ldexp_f32 v7, v7, v21
	v_ldexp_f32 v16, v16, v23
	v_cndmask_b32_e32 v6, 0, v6, vcc
	v_cmp_ngt_f32_e32 vcc, s4, v10
	v_ldexp_f32 v17, v17, v25
	s_nop 0
	v_cndmask_b32_e32 v7, 0, v7, vcc
	v_cmp_ngt_f32_e32 vcc, s4, v12
	s_nop 1
	v_cndmask_b32_e32 v16, 0, v16, vcc
	v_cmp_ngt_f32_e32 vcc, s4, v13
	s_nop 1
	v_cndmask_b32_e32 v17, 0, v17, vcc
	v_cmp_nlt_f32_e32 vcc, s5, v2
	s_nop 1
	v_cndmask_b32_e32 v6, v11, v6, vcc
	v_cmp_nlt_f32_e32 vcc, s5, v10
	v_cvt_f16_f32_e32 v2, v6
	v_mul_u32_u24_e32 v2, 0x10001, v2
	v_cndmask_b32_e32 v10, v11, v7, vcc
	v_cmp_nlt_f32_e32 vcc, s5, v12
	v_pk_mul_f16 v31, v31, v2
	v_pk_mul_f16 v32, v32, v2
	v_cndmask_b32_e32 v7, v11, v16, vcc
	v_cvt_f16_f32_e32 v12, v7
	v_cmp_nlt_f32_e32 vcc, s5, v13
	s_nop 1
	v_cndmask_b32_e32 v11, v11, v17, vcc
	v_pk_fma_f32 v[4:5], v[4:5], v[6:7], v[10:11]
	v_mul_u32_u24_e32 v6, 0x10001, v12
	v_pk_mul_f16 v26, v26, v6
	v_pk_mul_f16 v3, v3, v6
	v_mov_b64_e32 v[12:13], v[8:9]
.LBB13_16:
	v_cmp_gt_i32_e32 vcc, s30, v1
	s_and_saveexec_b64 s[4:5], vcc
	s_cbranch_execz .LBB13_25
; %bb.17:
	s_load_dword s6, s[0:1], 0xd4
	v_mov_b32_e32 v2, 1.0
	s_waitcnt lgkmcnt(0)
	s_cmp_lg_u32 s6, 1
	s_cselect_b64 s[0:1], -1, 0
	s_cmp_eq_u32 s6, 1
	s_cselect_b64 s[4:5], -1, 0
	s_and_b64 vcc, exec, s[0:1]
	s_cbranch_vccnz .LBB13_19
; %bb.18:
	v_div_scale_f32 v2, s[8:9], v4, v4, 1.0
	v_rcp_f32_e32 v6, v2
	v_div_scale_f32 v7, vcc, 1.0, v4, 1.0
	v_fma_f32 v8, -v2, v6, 1.0
	v_fmac_f32_e32 v6, v8, v6
	v_mul_f32_e32 v8, v7, v6
	v_fma_f32 v9, -v2, v8, v7
	v_fmac_f32_e32 v8, v9, v6
	v_fma_f32 v2, -v2, v8, v7
	v_div_fmas_f32 v2, v2, v6, v8
	v_div_fixup_f32 v2, v2, v4, 1.0
.LBB13_19:
	s_mul_i32 s33, s33, s30
	v_add_u32_e32 v1, s33, v1
	v_mul_lo_u32 v1, v1, s31
	v_add3_u32 v1, s35, v14, v1
	v_cvt_f32_f16_sdwa v9, v31 dst_sel:DWORD dst_unused:UNUSED_PAD src0_sel:WORD_1
	v_cvt_f32_f16_e32 v8, v31
	v_cvt_f32_f16_sdwa v11, v32 dst_sel:DWORD dst_unused:UNUSED_PAD src0_sel:WORD_1
	v_cvt_f32_f16_e32 v10, v32
	v_cmp_eq_u32_e32 vcc, 0, v0
	v_mul_lo_u32 v0, s6, v1
	v_add_u32_e32 v0, s3, v0
	v_lshl_add_u32 v6, v0, 7, v15
	v_mov_b32_e32 v7, 0
	s_and_b64 s[0:1], vcc, s[0:1]
	v_lshl_add_u64 v[16:17], v[6:7], 2, s[24:25]
	v_pk_mul_f32 v[6:7], v[2:3], v[8:9] op_sel_hi:[0,1]
	v_pk_mul_f32 v[8:9], v[2:3], v[10:11] op_sel_hi:[0,1]
	global_store_dwordx4 v[16:17], v[6:9], off
	s_and_saveexec_b64 s[2:3], s[0:1]
	s_cbranch_execz .LBB13_21
; %bb.20:
	v_ashrrev_i32_e32 v1, 31, v0
	v_lshl_add_u64 v[6:7], v[0:1], 3, s[26:27]
	v_mov_b32_e32 v8, v12
	v_mov_b32_e32 v9, v4
	global_store_dwordx2 v[6:7], v[8:9], off
.LBB13_21:
	s_or_b64 exec, exec, s[2:3]
	s_andn2_b64 vcc, exec, s[4:5]
	v_mov_b32_e32 v2, 1.0
	s_cbranch_vccnz .LBB13_23
; %bb.22:
	v_div_scale_f32 v1, s[2:3], v5, v5, 1.0
	v_rcp_f32_e32 v2, v1
	v_div_scale_f32 v4, vcc, 1.0, v5, 1.0
	v_fma_f32 v6, -v1, v2, 1.0
	v_fmac_f32_e32 v2, v6, v2
	v_mul_f32_e32 v6, v4, v2
	v_fma_f32 v7, -v1, v6, v4
	v_fmac_f32_e32 v6, v7, v2
	v_fma_f32 v1, -v1, v6, v4
	v_div_fmas_f32 v1, v1, v2, v6
	v_div_fixup_f32 v2, v1, v5, 1.0
.LBB13_23:
	v_cvt_f32_f16_sdwa v9, v26 dst_sel:DWORD dst_unused:UNUSED_PAD src0_sel:WORD_1
	v_cvt_f32_f16_e32 v8, v26
	v_cvt_f32_f16_sdwa v11, v3 dst_sel:DWORD dst_unused:UNUSED_PAD src0_sel:WORD_1
	v_cvt_f32_f16_e32 v10, v3
	v_add_u32_e32 v0, s6, v0
	v_lshl_add_u32 v6, v0, 7, v15
	v_mov_b32_e32 v7, 0
	v_lshl_add_u64 v[14:15], v[6:7], 2, s[24:25]
	v_pk_mul_f32 v[6:7], v[2:3], v[8:9] op_sel_hi:[0,1]
	v_pk_mul_f32 v[8:9], v[2:3], v[10:11] op_sel_hi:[0,1]
	global_store_dwordx4 v[14:15], v[6:9], off
	s_and_b64 exec, exec, s[0:1]
	s_cbranch_execz .LBB13_25
; %bb.24:
	v_ashrrev_i32_e32 v1, 31, v0
	v_lshl_add_u64 v[0:1], v[0:1], 3, s[26:27]
	v_mov_b32_e32 v4, v13
	global_store_dwordx2 v[0:1], v[4:5], off
.LBB13_25:
	s_endpgm
	.section	.rodata,"a",@progbits
	.p2align	6, 0x0
	.amdhsa_kernel _ZL15flash_attn_tileILi192ELi128ELi2ELi8ELb0EEvPKcS1_S1_S1_S1_PKiPfP15HIP_vector_typeIfLj2EEffffjfiS5_IjLj3EEiiiiiiiiiiiliiliiiiil
		.amdhsa_group_segment_fixed_size 11776
		.amdhsa_private_segment_fixed_size 0
		.amdhsa_kernarg_size 464
		.amdhsa_user_sgpr_count 2
		.amdhsa_user_sgpr_dispatch_ptr 0
		.amdhsa_user_sgpr_queue_ptr 0
		.amdhsa_user_sgpr_kernarg_segment_ptr 1
		.amdhsa_user_sgpr_dispatch_id 0
		.amdhsa_user_sgpr_kernarg_preload_length 0
		.amdhsa_user_sgpr_kernarg_preload_offset 0
		.amdhsa_user_sgpr_private_segment_size 0
		.amdhsa_uses_dynamic_stack 0
		.amdhsa_enable_private_segment 0
		.amdhsa_system_sgpr_workgroup_id_x 1
		.amdhsa_system_sgpr_workgroup_id_y 1
		.amdhsa_system_sgpr_workgroup_id_z 1
		.amdhsa_system_sgpr_workgroup_info 0
		.amdhsa_system_vgpr_workitem_id 1
		.amdhsa_next_free_vgpr 64
		.amdhsa_next_free_sgpr 48
		.amdhsa_accum_offset 64
		.amdhsa_reserve_vcc 1
		.amdhsa_float_round_mode_32 0
		.amdhsa_float_round_mode_16_64 0
		.amdhsa_float_denorm_mode_32 3
		.amdhsa_float_denorm_mode_16_64 3
		.amdhsa_dx10_clamp 1
		.amdhsa_ieee_mode 1
		.amdhsa_fp16_overflow 0
		.amdhsa_tg_split 0
		.amdhsa_exception_fp_ieee_invalid_op 0
		.amdhsa_exception_fp_denorm_src 0
		.amdhsa_exception_fp_ieee_div_zero 0
		.amdhsa_exception_fp_ieee_overflow 0
		.amdhsa_exception_fp_ieee_underflow 0
		.amdhsa_exception_fp_ieee_inexact 0
		.amdhsa_exception_int_div_zero 0
	.end_amdhsa_kernel
	.section	.text._ZL15flash_attn_tileILi192ELi128ELi2ELi8ELb0EEvPKcS1_S1_S1_S1_PKiPfP15HIP_vector_typeIfLj2EEffffjfiS5_IjLj3EEiiiiiiiiiiiliiliiiiil,"axG",@progbits,_ZL15flash_attn_tileILi192ELi128ELi2ELi8ELb0EEvPKcS1_S1_S1_S1_PKiPfP15HIP_vector_typeIfLj2EEffffjfiS5_IjLj3EEiiiiiiiiiiiliiliiiiil,comdat
.Lfunc_end13:
	.size	_ZL15flash_attn_tileILi192ELi128ELi2ELi8ELb0EEvPKcS1_S1_S1_S1_PKiPfP15HIP_vector_typeIfLj2EEffffjfiS5_IjLj3EEiiiiiiiiiiiliiliiiiil, .Lfunc_end13-_ZL15flash_attn_tileILi192ELi128ELi2ELi8ELb0EEvPKcS1_S1_S1_S1_PKiPfP15HIP_vector_typeIfLj2EEffffjfiS5_IjLj3EEiiiiiiiiiiiliiliiiiil
                                        ; -- End function
	.set _ZL15flash_attn_tileILi192ELi128ELi2ELi8ELb0EEvPKcS1_S1_S1_S1_PKiPfP15HIP_vector_typeIfLj2EEffffjfiS5_IjLj3EEiiiiiiiiiiiliiliiiiil.num_vgpr, 64
	.set _ZL15flash_attn_tileILi192ELi128ELi2ELi8ELb0EEvPKcS1_S1_S1_S1_PKiPfP15HIP_vector_typeIfLj2EEffffjfiS5_IjLj3EEiiiiiiiiiiiliiliiiiil.num_agpr, 0
	.set _ZL15flash_attn_tileILi192ELi128ELi2ELi8ELb0EEvPKcS1_S1_S1_S1_PKiPfP15HIP_vector_typeIfLj2EEffffjfiS5_IjLj3EEiiiiiiiiiiiliiliiiiil.numbered_sgpr, 48
	.set _ZL15flash_attn_tileILi192ELi128ELi2ELi8ELb0EEvPKcS1_S1_S1_S1_PKiPfP15HIP_vector_typeIfLj2EEffffjfiS5_IjLj3EEiiiiiiiiiiiliiliiiiil.num_named_barrier, 0
	.set _ZL15flash_attn_tileILi192ELi128ELi2ELi8ELb0EEvPKcS1_S1_S1_S1_PKiPfP15HIP_vector_typeIfLj2EEffffjfiS5_IjLj3EEiiiiiiiiiiiliiliiiiil.private_seg_size, 0
	.set _ZL15flash_attn_tileILi192ELi128ELi2ELi8ELb0EEvPKcS1_S1_S1_S1_PKiPfP15HIP_vector_typeIfLj2EEffffjfiS5_IjLj3EEiiiiiiiiiiiliiliiiiil.uses_vcc, 1
	.set _ZL15flash_attn_tileILi192ELi128ELi2ELi8ELb0EEvPKcS1_S1_S1_S1_PKiPfP15HIP_vector_typeIfLj2EEffffjfiS5_IjLj3EEiiiiiiiiiiiliiliiiiil.uses_flat_scratch, 0
	.set _ZL15flash_attn_tileILi192ELi128ELi2ELi8ELb0EEvPKcS1_S1_S1_S1_PKiPfP15HIP_vector_typeIfLj2EEffffjfiS5_IjLj3EEiiiiiiiiiiiliiliiiiil.has_dyn_sized_stack, 0
	.set _ZL15flash_attn_tileILi192ELi128ELi2ELi8ELb0EEvPKcS1_S1_S1_S1_PKiPfP15HIP_vector_typeIfLj2EEffffjfiS5_IjLj3EEiiiiiiiiiiiliiliiiiil.has_recursion, 0
	.set _ZL15flash_attn_tileILi192ELi128ELi2ELi8ELb0EEvPKcS1_S1_S1_S1_PKiPfP15HIP_vector_typeIfLj2EEffffjfiS5_IjLj3EEiiiiiiiiiiiliiliiiiil.has_indirect_call, 0
	.section	.AMDGPU.csdata,"",@progbits
; Kernel info:
; codeLenInByte = 10372
; TotalNumSgprs: 54
; NumVgprs: 64
; NumAgprs: 0
; TotalNumVgprs: 64
; ScratchSize: 0
; MemoryBound: 0
; FloatMode: 240
; IeeeMode: 1
; LDSByteSize: 11776 bytes/workgroup (compile time only)
; SGPRBlocks: 6
; VGPRBlocks: 7
; NumSGPRsForWavesPerEU: 54
; NumVGPRsForWavesPerEU: 64
; AccumOffset: 64
; Occupancy: 8
; WaveLimiterHint : 1
; COMPUTE_PGM_RSRC2:SCRATCH_EN: 0
; COMPUTE_PGM_RSRC2:USER_SGPR: 2
; COMPUTE_PGM_RSRC2:TRAP_HANDLER: 0
; COMPUTE_PGM_RSRC2:TGID_X_EN: 1
; COMPUTE_PGM_RSRC2:TGID_Y_EN: 1
; COMPUTE_PGM_RSRC2:TGID_Z_EN: 1
; COMPUTE_PGM_RSRC2:TIDIG_COMP_CNT: 1
; COMPUTE_PGM_RSRC3_GFX90A:ACCUM_OFFSET: 15
; COMPUTE_PGM_RSRC3_GFX90A:TG_SPLIT: 0
	.section	.text._ZL33flash_attn_stream_k_fixup_uniformILi128ELi2ELi8EEvPfPK15HIP_vector_typeIfLj2EEiiiiiiS1_IjLj3EES5_S5_,"axG",@progbits,_ZL33flash_attn_stream_k_fixup_uniformILi128ELi2ELi8EEvPfPK15HIP_vector_typeIfLj2EEiiiiiiS1_IjLj3EES5_S5_,comdat
	.globl	_ZL33flash_attn_stream_k_fixup_uniformILi128ELi2ELi8EEvPfPK15HIP_vector_typeIfLj2EEiiiiiiS1_IjLj3EES5_S5_ ; -- Begin function _ZL33flash_attn_stream_k_fixup_uniformILi128ELi2ELi8EEvPfPK15HIP_vector_typeIfLj2EEiiiiiiS1_IjLj3EES5_S5_
	.p2align	8
	.type	_ZL33flash_attn_stream_k_fixup_uniformILi128ELi2ELi8EEvPfPK15HIP_vector_typeIfLj2EEiiiiiiS1_IjLj3EES5_S5_,@function
_ZL33flash_attn_stream_k_fixup_uniformILi128ELi2ELi8EEvPfPK15HIP_vector_typeIfLj2EEiiiiiiS1_IjLj3EES5_S5_: ; @_ZL33flash_attn_stream_k_fixup_uniformILi128ELi2ELi8EEvPfPK15HIP_vector_typeIfLj2EEiiiiiiS1_IjLj3EES5_S5_
; %bb.0:
	s_load_dwordx8 s[8:15], s[0:1], 0x1c
	s_load_dwordx2 s[6:7], s[0:1], 0x10
	s_load_dwordx4 s[20:23], s[0:1], 0x3c
	s_waitcnt lgkmcnt(0)
	s_mul_hi_u32 s5, s11, s2
	s_add_i32 s5, s2, s5
	s_lshr_b32 s5, s5, s12
	s_mul_i32 s11, s5, s13
	s_sub_i32 s11, s2, s11
	s_mul_hi_u32 s12, s11, s14
	s_add_i32 s12, s11, s12
	s_lshr_b32 s16, s12, s15
	s_mul_i32 s12, s16, s20
	s_sub_i32 s11, s11, s12
	;; [unrolled: 5-line block ×3, first 2 shown]
	s_lshl_b32 s11, s12, 3
	s_lshl_b32 s12, s17, 1
	s_add_i32 s12, s12, s3
	s_cmp_lt_i32 s12, s6
	s_cselect_b64 s[12:13], -1, 0
	s_add_i32 s14, s11, s4
	s_cmp_lt_i32 s14, s9
	s_cselect_b64 s[14:15], -1, 0
	s_and_b64 s[12:13], s[12:13], s[14:15]
	s_andn2_b64 vcc, exec, s[12:13]
	s_cbranch_vccnz .LBB14_6
; %bb.1:
	s_load_dwordx4 s[12:15], s[0:1], 0x0
	s_mul_i32 s0, s5, s6
	s_add_i32 s0, s0, s3
	s_mul_i32 s0, s0, s7
	s_mul_i32 s16, s16, s9
	s_add_i32 s0, s0, s4
	s_add_i32 s0, s0, s16
	s_mul_i32 s1, s7, s17
	s_add_i32 s0, s0, s11
	s_lshl_b32 s1, s1, 8
	s_lshl_b32 s0, s0, 7
	s_add_i32 s1, s1, s0
	v_or_b32_e32 v4, s1, v0
	s_waitcnt lgkmcnt(0)
	v_mov_b32_e32 v2, s12
	v_mov_b32_e32 v3, s13
	v_ashrrev_i32_e32 v5, 31, v4
	v_lshl_add_u64 v[2:3], v[4:5], 2, v[2:3]
	global_load_dword v5, v[2:3], off
	s_mul_i32 s5, s10, s2
	s_lshl_b32 s11, s3, 3
	s_add_i32 s9, s5, s10
	s_add_i32 s0, s11, s4
	s_lshl_b32 s1, s9, 4
	s_add_i32 s0, s0, s1
	s_add_i32 s0, s0, -16
	s_ashr_i32 s1, s0, 31
	s_lshl_b64 s[0:1], s[0:1], 3
	s_add_u32 s0, s14, s0
	s_addc_u32 s1, s15, s1
	s_load_dword s12, s[0:1], 0x4
	s_add_i32 s6, s9, -2
	s_cmp_lt_i32 s6, s5
	s_cbranch_scc1 .LBB14_4
; %bb.2:
	s_lshl_b32 s6, s8, 6
	s_ashr_i32 s7, s6, 31
	s_lshl_b64 s[6:7], s[6:7], 2
	s_add_u32 s6, s14, s6
	s_addc_u32 s7, s15, s7
	s_add_i32 s2, s2, 1
	s_load_dword s0, s[0:1], 0x0
	s_mul_i32 s1, s10, s2
	s_lshl_b32 s3, s3, 10
	s_lshl_b32 s10, s4, 7
	;; [unrolled: 1-line block ×3, first 2 shown]
	s_add_i32 s3, s10, s3
	s_lshl_b32 s1, s1, 4
	s_add_i32 s3, s3, s2
	s_add_i32 s1, s4, s1
	s_lshl_b32 s2, s8, 4
	s_add_i32 s1, s1, s2
	v_or_b32_e32 v0, s3, v0
	s_add_i32 s1, s1, s11
	s_add_i32 s9, s9, -1
	v_add_u32_e32 v0, 0xfffff000, v0
	s_sub_i32 s2, s1, 32
	s_waitcnt lgkmcnt(0)
	v_mov_b32_e32 v7, s0
	v_mov_b32_e32 v4, s12
	s_mov_b32 s4, 0x3fb8aa3b
	s_mov_b32 s8, 0xc2ce8ed0
	s_mov_b32 s10, 0x42b17218
	v_mov_b32_e32 v6, 0x7f800000
	s_mov_b32 s11, 0xc1a00000
.LBB14_3:                               ; =>This Inner Loop Header: Depth=1
	v_ashrrev_i32_e32 v1, 31, v0
	v_lshl_add_u64 v[8:9], v[0:1], 2, s[6:7]
	global_load_dword v9, v[8:9], off
	s_ashr_i32 s3, s2, 31
	s_lshl_b64 s[0:1], s[2:3], 3
	s_add_u32 s0, s14, s0
	s_addc_u32 s1, s15, s1
	s_load_dwordx2 s[0:1], s[0:1], 0x0
	v_max_f32_e32 v1, v7, v7
	s_add_i32 s9, s9, -1
	s_add_i32 s2, s2, -16
	v_add_u32_e32 v0, 0xfffff800, v0
	s_waitcnt lgkmcnt(0)
	v_max_f32_e64 v10, s0, s0
	v_max_f32_e32 v1, v1, v10
	v_sub_f32_e32 v11, s0, v1
	v_sub_f32_e32 v10, v7, v1
	v_mul_f32_e32 v12, 0x3fb8aa3b, v11
	v_mov_b32_e32 v7, v1
	v_mul_f32_e32 v1, 0x3fb8aa3b, v10
	v_fma_f32 v15, v11, s4, -v12
	v_rndne_f32_e32 v16, v12
	v_fma_f32 v13, v10, s4, -v1
	v_rndne_f32_e32 v14, v1
	v_fmac_f32_e32 v15, 0x32a5705f, v11
	v_sub_f32_e32 v12, v12, v16
	v_fmac_f32_e32 v13, 0x32a5705f, v10
	v_sub_f32_e32 v1, v1, v14
	v_add_f32_e32 v12, v12, v15
	v_cvt_i32_f32_e32 v16, v16
	v_add_f32_e32 v1, v1, v13
	v_exp_f32_e32 v12, v12
	v_cvt_i32_f32_e32 v14, v14
	v_exp_f32_e32 v1, v1
	v_cmp_ngt_f32_e32 vcc, s8, v11
	v_ldexp_f32 v12, v12, v16
	v_mov_b32_e32 v8, s1
	v_ldexp_f32 v1, v1, v14
	v_cmp_ngt_f32_e64 s[0:1], s8, v10
	v_cndmask_b32_e32 v12, 0, v12, vcc
	v_cmp_nlt_f32_e32 vcc, s10, v11
	v_cndmask_b32_e64 v1, 0, v1, s[0:1]
	v_cmp_nlt_f32_e64 s[0:1], s10, v10
	v_cndmask_b32_e32 v12, v6, v12, vcc
	v_cmp_le_f32_e32 vcc, s11, v11
	v_cndmask_b32_e64 v1, v6, v1, s[0:1]
	v_cmp_le_f32_e64 s[0:1], s11, v10
	v_cndmask_b32_e32 v12, 0, v12, vcc
	s_cmp_le_i32 s9, s5
	v_cndmask_b32_e64 v10, 0, v1, s[0:1]
	s_waitcnt vmcnt(0)
	v_pk_mul_f32 v[8:9], v[8:9], v[12:13] op_sel_hi:[1,0]
	s_nop 0
	v_pk_fma_f32 v[4:5], v[4:5], v[10:11], v[8:9] op_sel_hi:[1,0,1]
	s_cbranch_scc0 .LBB14_3
	s_branch .LBB14_5
.LBB14_4:
	s_waitcnt lgkmcnt(0)
	v_mov_b32_e32 v4, s12
.LBB14_5:
	s_waitcnt vmcnt(0)
	v_div_scale_f32 v0, s[0:1], v4, v4, v5
	v_rcp_f32_e32 v1, v0
	v_div_scale_f32 v6, vcc, v5, v4, v5
	v_fma_f32 v7, -v0, v1, 1.0
	v_fmac_f32_e32 v1, v7, v1
	v_mul_f32_e32 v7, v6, v1
	v_fma_f32 v8, -v0, v7, v6
	v_fmac_f32_e32 v7, v8, v1
	v_fma_f32 v0, -v0, v7, v6
	v_div_fmas_f32 v0, v0, v1, v7
	v_div_fixup_f32 v0, v0, v4, v5
	global_store_dword v[2:3], v0, off
.LBB14_6:
	s_endpgm
	.section	.rodata,"a",@progbits
	.p2align	6, 0x0
	.amdhsa_kernel _ZL33flash_attn_stream_k_fixup_uniformILi128ELi2ELi8EEvPfPK15HIP_vector_typeIfLj2EEiiiiiiS1_IjLj3EES5_S5_
		.amdhsa_group_segment_fixed_size 0
		.amdhsa_private_segment_fixed_size 0
		.amdhsa_kernarg_size 76
		.amdhsa_user_sgpr_count 2
		.amdhsa_user_sgpr_dispatch_ptr 0
		.amdhsa_user_sgpr_queue_ptr 0
		.amdhsa_user_sgpr_kernarg_segment_ptr 1
		.amdhsa_user_sgpr_dispatch_id 0
		.amdhsa_user_sgpr_kernarg_preload_length 0
		.amdhsa_user_sgpr_kernarg_preload_offset 0
		.amdhsa_user_sgpr_private_segment_size 0
		.amdhsa_uses_dynamic_stack 0
		.amdhsa_enable_private_segment 0
		.amdhsa_system_sgpr_workgroup_id_x 1
		.amdhsa_system_sgpr_workgroup_id_y 1
		.amdhsa_system_sgpr_workgroup_id_z 1
		.amdhsa_system_sgpr_workgroup_info 0
		.amdhsa_system_vgpr_workitem_id 0
		.amdhsa_next_free_vgpr 17
		.amdhsa_next_free_sgpr 24
		.amdhsa_accum_offset 20
		.amdhsa_reserve_vcc 1
		.amdhsa_float_round_mode_32 0
		.amdhsa_float_round_mode_16_64 0
		.amdhsa_float_denorm_mode_32 3
		.amdhsa_float_denorm_mode_16_64 3
		.amdhsa_dx10_clamp 1
		.amdhsa_ieee_mode 1
		.amdhsa_fp16_overflow 0
		.amdhsa_tg_split 0
		.amdhsa_exception_fp_ieee_invalid_op 0
		.amdhsa_exception_fp_denorm_src 0
		.amdhsa_exception_fp_ieee_div_zero 0
		.amdhsa_exception_fp_ieee_overflow 0
		.amdhsa_exception_fp_ieee_underflow 0
		.amdhsa_exception_fp_ieee_inexact 0
		.amdhsa_exception_int_div_zero 0
	.end_amdhsa_kernel
	.section	.text._ZL33flash_attn_stream_k_fixup_uniformILi128ELi2ELi8EEvPfPK15HIP_vector_typeIfLj2EEiiiiiiS1_IjLj3EES5_S5_,"axG",@progbits,_ZL33flash_attn_stream_k_fixup_uniformILi128ELi2ELi8EEvPfPK15HIP_vector_typeIfLj2EEiiiiiiS1_IjLj3EES5_S5_,comdat
.Lfunc_end14:
	.size	_ZL33flash_attn_stream_k_fixup_uniformILi128ELi2ELi8EEvPfPK15HIP_vector_typeIfLj2EEiiiiiiS1_IjLj3EES5_S5_, .Lfunc_end14-_ZL33flash_attn_stream_k_fixup_uniformILi128ELi2ELi8EEvPfPK15HIP_vector_typeIfLj2EEiiiiiiS1_IjLj3EES5_S5_
                                        ; -- End function
	.set _ZL33flash_attn_stream_k_fixup_uniformILi128ELi2ELi8EEvPfPK15HIP_vector_typeIfLj2EEiiiiiiS1_IjLj3EES5_S5_.num_vgpr, 17
	.set _ZL33flash_attn_stream_k_fixup_uniformILi128ELi2ELi8EEvPfPK15HIP_vector_typeIfLj2EEiiiiiiS1_IjLj3EES5_S5_.num_agpr, 0
	.set _ZL33flash_attn_stream_k_fixup_uniformILi128ELi2ELi8EEvPfPK15HIP_vector_typeIfLj2EEiiiiiiS1_IjLj3EES5_S5_.numbered_sgpr, 24
	.set _ZL33flash_attn_stream_k_fixup_uniformILi128ELi2ELi8EEvPfPK15HIP_vector_typeIfLj2EEiiiiiiS1_IjLj3EES5_S5_.num_named_barrier, 0
	.set _ZL33flash_attn_stream_k_fixup_uniformILi128ELi2ELi8EEvPfPK15HIP_vector_typeIfLj2EEiiiiiiS1_IjLj3EES5_S5_.private_seg_size, 0
	.set _ZL33flash_attn_stream_k_fixup_uniformILi128ELi2ELi8EEvPfPK15HIP_vector_typeIfLj2EEiiiiiiS1_IjLj3EES5_S5_.uses_vcc, 1
	.set _ZL33flash_attn_stream_k_fixup_uniformILi128ELi2ELi8EEvPfPK15HIP_vector_typeIfLj2EEiiiiiiS1_IjLj3EES5_S5_.uses_flat_scratch, 0
	.set _ZL33flash_attn_stream_k_fixup_uniformILi128ELi2ELi8EEvPfPK15HIP_vector_typeIfLj2EEiiiiiiS1_IjLj3EES5_S5_.has_dyn_sized_stack, 0
	.set _ZL33flash_attn_stream_k_fixup_uniformILi128ELi2ELi8EEvPfPK15HIP_vector_typeIfLj2EEiiiiiiS1_IjLj3EES5_S5_.has_recursion, 0
	.set _ZL33flash_attn_stream_k_fixup_uniformILi128ELi2ELi8EEvPfPK15HIP_vector_typeIfLj2EEiiiiiiS1_IjLj3EES5_S5_.has_indirect_call, 0
	.section	.AMDGPU.csdata,"",@progbits
; Kernel info:
; codeLenInByte = 836
; TotalNumSgprs: 30
; NumVgprs: 17
; NumAgprs: 0
; TotalNumVgprs: 17
; ScratchSize: 0
; MemoryBound: 0
; FloatMode: 240
; IeeeMode: 1
; LDSByteSize: 0 bytes/workgroup (compile time only)
; SGPRBlocks: 3
; VGPRBlocks: 2
; NumSGPRsForWavesPerEU: 30
; NumVGPRsForWavesPerEU: 17
; AccumOffset: 20
; Occupancy: 8
; WaveLimiterHint : 0
; COMPUTE_PGM_RSRC2:SCRATCH_EN: 0
; COMPUTE_PGM_RSRC2:USER_SGPR: 2
; COMPUTE_PGM_RSRC2:TRAP_HANDLER: 0
; COMPUTE_PGM_RSRC2:TGID_X_EN: 1
; COMPUTE_PGM_RSRC2:TGID_Y_EN: 1
; COMPUTE_PGM_RSRC2:TGID_Z_EN: 1
; COMPUTE_PGM_RSRC2:TIDIG_COMP_CNT: 0
; COMPUTE_PGM_RSRC3_GFX90A:ACCUM_OFFSET: 4
; COMPUTE_PGM_RSRC3_GFX90A:TG_SPLIT: 0
	.section	.text._ZL33flash_attn_stream_k_fixup_generalILi128ELi2ELi8EEvPfPK15HIP_vector_typeIfLj2EEiiiiS1_IjLj3EES5_S5_S5_,"axG",@progbits,_ZL33flash_attn_stream_k_fixup_generalILi128ELi2ELi8EEvPfPK15HIP_vector_typeIfLj2EEiiiiS1_IjLj3EES5_S5_S5_,comdat
	.globl	_ZL33flash_attn_stream_k_fixup_generalILi128ELi2ELi8EEvPfPK15HIP_vector_typeIfLj2EEiiiiS1_IjLj3EES5_S5_S5_ ; -- Begin function _ZL33flash_attn_stream_k_fixup_generalILi128ELi2ELi8EEvPfPK15HIP_vector_typeIfLj2EEiiiiS1_IjLj3EES5_S5_S5_
	.p2align	8
	.type	_ZL33flash_attn_stream_k_fixup_generalILi128ELi2ELi8EEvPfPK15HIP_vector_typeIfLj2EEiiiiS1_IjLj3EES5_S5_S5_,@function
_ZL33flash_attn_stream_k_fixup_generalILi128ELi2ELi8EEvPfPK15HIP_vector_typeIfLj2EEiiiiS1_IjLj3EES5_S5_S5_: ; @_ZL33flash_attn_stream_k_fixup_generalILi128ELi2ELi8EEvPfPK15HIP_vector_typeIfLj2EEiiiiS1_IjLj3EES5_S5_S5_
; %bb.0:
	s_load_dwordx4 s[8:11], s[0:1], 0x10
	s_load_dword s22, s[0:1], 0x50
	s_mov_b32 s12, 0
	s_waitcnt lgkmcnt(0)
	s_mul_hi_i32 s13, s11, s2
	s_cmp_lg_u64 s[12:13], 0
	s_mul_i32 s5, s11, s2
	s_cbranch_scc0 .LBB15_20
; %bb.1:
	s_add_u32 s6, s22, 0
	s_addc_u32 s7, 0, 0
	s_xor_b64 s[6:7], s[6:7], 0
	v_cvt_f32_u32_e32 v1, s6
	v_cvt_f32_u32_e32 v2, s7
	s_sub_u32 s12, 0, s6
	s_subb_u32 s18, 0, s7
	v_fmamk_f32 v1, v2, 0x4f800000, v1
	v_rcp_f32_e32 v1, v1
	s_nop 0
	v_mul_f32_e32 v1, 0x5f7ffffc, v1
	v_mul_f32_e32 v2, 0x2f800000, v1
	v_trunc_f32_e32 v2, v2
	v_fmamk_f32 v1, v2, 0xcf800000, v1
	v_cvt_u32_f32_e32 v2, v2
	v_cvt_u32_f32_e32 v1, v1
	v_readfirstlane_b32 s19, v2
	v_readfirstlane_b32 s14, v1
	s_mul_i32 s15, s12, s19
	s_mul_hi_u32 s21, s12, s14
	s_mul_i32 s20, s18, s14
	s_add_i32 s15, s21, s15
	s_add_i32 s15, s15, s20
	s_mul_i32 s23, s12, s14
	s_mul_i32 s21, s14, s15
	s_mul_hi_u32 s24, s14, s23
	s_mul_hi_u32 s20, s14, s15
	s_add_u32 s21, s24, s21
	s_addc_u32 s20, 0, s20
	s_mul_hi_u32 s25, s19, s23
	s_mul_i32 s23, s19, s23
	s_add_u32 s21, s21, s23
	s_mul_hi_u32 s24, s19, s15
	s_addc_u32 s20, s20, s25
	s_addc_u32 s21, s24, 0
	s_mul_i32 s15, s19, s15
	s_add_u32 s15, s20, s15
	s_addc_u32 s20, 0, s21
	s_add_u32 s21, s14, s15
	s_cselect_b64 s[14:15], -1, 0
	s_cmp_lg_u64 s[14:15], 0
	s_addc_u32 s19, s19, s20
	s_mul_i32 s14, s12, s19
	s_mul_hi_u32 s15, s12, s21
	s_add_i32 s14, s15, s14
	s_mul_i32 s18, s18, s21
	s_add_i32 s14, s14, s18
	s_mul_i32 s12, s12, s21
	s_mul_hi_u32 s18, s19, s12
	s_mul_i32 s20, s19, s12
	s_mul_i32 s24, s21, s14
	s_mul_hi_u32 s12, s21, s12
	s_mul_hi_u32 s23, s21, s14
	s_add_u32 s12, s12, s24
	s_addc_u32 s23, 0, s23
	s_add_u32 s12, s12, s20
	s_mul_hi_u32 s15, s19, s14
	s_addc_u32 s12, s23, s18
	s_addc_u32 s15, s15, 0
	s_mul_i32 s14, s19, s14
	s_add_u32 s12, s12, s14
	s_addc_u32 s18, 0, s15
	s_add_u32 s20, s21, s12
	s_cselect_b64 s[14:15], -1, 0
	s_cmp_lg_u64 s[14:15], 0
	s_addc_u32 s18, s19, s18
	s_ashr_i32 s14, s13, 31
	s_add_u32 s12, s5, s14
	s_mov_b32 s15, s14
	s_addc_u32 s13, s13, s14
	s_xor_b64 s[12:13], s[12:13], s[14:15]
	s_mul_i32 s21, s12, s18
	s_mul_hi_u32 s23, s12, s20
	s_mul_hi_u32 s19, s12, s18
	s_add_u32 s21, s23, s21
	s_addc_u32 s19, 0, s19
	s_mul_hi_u32 s24, s13, s20
	s_mul_i32 s20, s13, s20
	s_add_u32 s20, s21, s20
	s_mul_hi_u32 s23, s13, s18
	s_addc_u32 s19, s19, s24
	s_addc_u32 s20, s23, 0
	s_mul_i32 s18, s13, s18
	s_add_u32 s23, s19, s18
	s_addc_u32 s24, 0, s20
	s_mul_i32 s18, s6, s24
	s_mul_hi_u32 s19, s6, s23
	s_add_i32 s18, s19, s18
	s_mul_i32 s19, s7, s23
	s_add_i32 s25, s18, s19
	s_sub_i32 s20, s13, s25
	s_mul_i32 s18, s6, s23
	s_sub_u32 s12, s12, s18
	s_cselect_b64 s[18:19], -1, 0
	s_cmp_lg_u64 s[18:19], 0
	s_subb_u32 s26, s20, s7
	s_sub_u32 s27, s12, s6
	s_cselect_b64 s[20:21], -1, 0
	s_cmp_lg_u64 s[20:21], 0
	s_subb_u32 s20, s26, 0
	s_cmp_ge_u32 s20, s7
	s_cselect_b32 s21, -1, 0
	s_cmp_ge_u32 s27, s6
	s_cselect_b32 s26, -1, 0
	s_cmp_eq_u32 s20, s7
	s_cselect_b32 s20, s26, s21
	s_add_u32 s21, s23, 1
	s_addc_u32 s26, s24, 0
	s_add_u32 s27, s23, 2
	s_addc_u32 s28, s24, 0
	s_cmp_lg_u32 s20, 0
	s_cselect_b32 s20, s27, s21
	s_cselect_b32 s21, s28, s26
	s_cmp_lg_u64 s[18:19], 0
	s_subb_u32 s13, s13, s25
	s_cmp_ge_u32 s13, s7
	s_cselect_b32 s18, -1, 0
	s_cmp_ge_u32 s12, s6
	s_cselect_b32 s6, -1, 0
	s_cmp_eq_u32 s13, s7
	s_cselect_b32 s6, s6, s18
	s_cmp_lg_u32 s6, 0
	s_cselect_b32 s7, s21, s24
	s_cselect_b32 s6, s20, s23
	s_xor_b64 s[12:13], s[14:15], 0
	s_xor_b64 s[6:7], s[6:7], s[12:13]
	s_sub_u32 s6, s6, s12
	s_load_dwordx4 s[12:15], s[0:1], 0x44
	s_cbranch_execnz .LBB15_3
.LBB15_2:
	v_cvt_f32_u32_e32 v1, s22
	s_sub_i32 s6, 0, s22
	v_rcp_iflag_f32_e32 v1, v1
	s_nop 0
	v_mul_f32_e32 v1, 0x4f7ffffe, v1
	v_cvt_u32_f32_e32 v1, v1
	s_nop 0
	v_readfirstlane_b32 s7, v1
	s_mul_i32 s6, s6, s7
	s_mul_hi_u32 s6, s7, s6
	s_add_i32 s7, s7, s6
	s_mul_hi_u32 s6, s5, s7
	s_waitcnt lgkmcnt(0)
	s_mul_i32 s15, s6, s22
	s_sub_i32 s5, s5, s15
	s_add_i32 s7, s6, 1
	s_sub_i32 s15, s5, s22
	s_cmp_ge_u32 s5, s22
	s_cselect_b32 s6, s7, s6
	s_cselect_b32 s5, s15, s5
	s_add_i32 s7, s6, 1
	s_cmp_ge_u32 s5, s22
	s_cselect_b32 s6, s7, s6
.LBB15_3:
	s_add_i32 s5, s2, 1
	s_mul_hi_i32 s21, s11, s5
	s_mov_b32 s20, 0
	s_cmp_lg_u64 s[20:21], 0
	s_mul_i32 s5, s11, s5
	s_cbranch_scc0 .LBB15_21
; %bb.4:
	s_add_u32 s16, s22, 0
	s_addc_u32 s17, 0, 0
	s_xor_b64 s[18:19], s[16:17], 0
	v_cvt_f32_u32_e32 v1, s18
	v_cvt_f32_u32_e32 v2, s19
	s_sub_u32 s7, 0, s18
	s_waitcnt lgkmcnt(0)
	s_subb_u32 s15, 0, s19
	v_fmamk_f32 v1, v2, 0x4f800000, v1
	v_rcp_f32_e32 v1, v1
	s_nop 0
	v_mul_f32_e32 v1, 0x5f7ffffc, v1
	v_mul_f32_e32 v2, 0x2f800000, v1
	v_trunc_f32_e32 v2, v2
	v_fmamk_f32 v1, v2, 0xcf800000, v1
	v_cvt_u32_f32_e32 v2, v2
	v_cvt_u32_f32_e32 v1, v1
	v_readfirstlane_b32 s20, v2
	v_readfirstlane_b32 s23, v1
	s_mul_i32 s24, s7, s20
	s_mul_hi_u32 s26, s7, s23
	s_mul_i32 s25, s15, s23
	s_add_i32 s24, s26, s24
	s_add_i32 s24, s24, s25
	s_mul_i32 s27, s7, s23
	s_mul_i32 s26, s23, s24
	s_mul_hi_u32 s28, s23, s27
	s_mul_hi_u32 s25, s23, s24
	s_add_u32 s26, s28, s26
	s_addc_u32 s25, 0, s25
	s_mul_hi_u32 s29, s20, s27
	s_mul_i32 s27, s20, s27
	s_add_u32 s26, s26, s27
	s_mul_hi_u32 s28, s20, s24
	s_addc_u32 s25, s25, s29
	s_addc_u32 s26, s28, 0
	s_mul_i32 s24, s20, s24
	s_add_u32 s24, s25, s24
	s_addc_u32 s26, 0, s26
	s_add_u32 s23, s23, s24
	s_cselect_b64 s[24:25], -1, 0
	s_cmp_lg_u64 s[24:25], 0
	s_addc_u32 s20, s20, s26
	s_mul_i32 s24, s7, s20
	s_mul_hi_u32 s25, s7, s23
	s_add_i32 s24, s25, s24
	s_mul_i32 s15, s15, s23
	s_add_i32 s24, s24, s15
	s_mul_i32 s7, s7, s23
	s_mul_hi_u32 s25, s20, s7
	s_mul_i32 s26, s20, s7
	s_mul_i32 s28, s23, s24
	s_mul_hi_u32 s7, s23, s7
	s_mul_hi_u32 s27, s23, s24
	s_add_u32 s7, s7, s28
	s_addc_u32 s27, 0, s27
	s_add_u32 s7, s7, s26
	s_mul_hi_u32 s15, s20, s24
	s_addc_u32 s7, s27, s25
	s_addc_u32 s15, s15, 0
	s_mul_i32 s24, s20, s24
	s_add_u32 s7, s7, s24
	s_addc_u32 s15, 0, s15
	s_add_u32 s7, s23, s7
	s_cselect_b64 s[24:25], -1, 0
	s_cmp_lg_u64 s[24:25], 0
	s_addc_u32 s15, s20, s15
	s_ashr_i32 s24, s21, 31
	s_add_u32 s20, s5, s24
	s_mov_b32 s25, s24
	s_addc_u32 s21, s21, s24
	s_xor_b64 s[20:21], s[20:21], s[24:25]
	s_mul_i32 s26, s20, s15
	s_mul_hi_u32 s27, s20, s7
	s_mul_hi_u32 s23, s20, s15
	s_add_u32 s26, s27, s26
	s_addc_u32 s23, 0, s23
	s_mul_hi_u32 s28, s21, s7
	s_mul_i32 s7, s21, s7
	s_add_u32 s7, s26, s7
	s_mul_hi_u32 s27, s21, s15
	s_addc_u32 s7, s23, s28
	s_addc_u32 s23, s27, 0
	s_mul_i32 s15, s21, s15
	s_add_u32 s7, s7, s15
	s_addc_u32 s15, 0, s23
	s_mul_i32 s23, s18, s15
	s_mul_hi_u32 s26, s18, s7
	s_add_i32 s23, s26, s23
	s_mul_i32 s26, s19, s7
	s_add_i32 s23, s23, s26
	s_sub_i32 s28, s21, s23
	s_mul_i32 s26, s18, s7
	s_sub_u32 s20, s20, s26
	s_cselect_b64 s[26:27], -1, 0
	s_cmp_lg_u64 s[26:27], 0
	s_subb_u32 s30, s28, s19
	s_sub_u32 s31, s20, s18
	s_cselect_b64 s[28:29], -1, 0
	s_cmp_lg_u64 s[28:29], 0
	s_subb_u32 s28, s30, 0
	s_cmp_ge_u32 s28, s19
	s_cselect_b32 s29, -1, 0
	s_cmp_ge_u32 s31, s18
	s_cselect_b32 s30, -1, 0
	s_cmp_eq_u32 s28, s19
	s_cselect_b32 s28, s30, s29
	s_add_u32 s29, s7, 1
	s_addc_u32 s30, s15, 0
	s_add_u32 s31, s7, 2
	s_addc_u32 s33, s15, 0
	s_cmp_lg_u32 s28, 0
	s_cselect_b32 s28, s31, s29
	s_cselect_b32 s29, s33, s30
	s_cmp_lg_u64 s[26:27], 0
	s_subb_u32 s21, s21, s23
	s_cmp_ge_u32 s21, s19
	s_cselect_b32 s23, -1, 0
	s_cmp_ge_u32 s20, s18
	s_cselect_b32 s18, -1, 0
	s_cmp_eq_u32 s21, s19
	s_cselect_b32 s18, s18, s23
	s_cmp_lg_u32 s18, 0
	s_cselect_b32 s19, s29, s15
	s_cselect_b32 s18, s28, s7
	s_xor_b64 s[20:21], s[24:25], 0
	s_xor_b64 s[18:19], s[18:19], s[20:21]
	s_sub_u32 s18, s18, s20
	s_cbranch_execnz .LBB15_6
.LBB15_5:
	v_cvt_f32_u32_e32 v1, s22
	s_sub_i32 s7, 0, s22
	v_rcp_iflag_f32_e32 v1, v1
	s_nop 0
	v_mul_f32_e32 v1, 0x4f7ffffe, v1
	v_cvt_u32_f32_e32 v1, v1
	s_waitcnt lgkmcnt(0)
	v_readfirstlane_b32 s15, v1
	s_mul_i32 s7, s7, s15
	s_mul_hi_u32 s7, s15, s7
	s_add_i32 s15, s15, s7
	s_mul_hi_u32 s7, s5, s15
	s_mul_i32 s16, s7, s22
	s_sub_i32 s5, s5, s16
	s_add_i32 s15, s7, 1
	s_sub_i32 s16, s5, s22
	s_cmp_ge_u32 s5, s22
	s_cselect_b32 s7, s15, s7
	s_cselect_b32 s5, s16, s5
	s_add_i32 s15, s7, 1
	s_cmp_ge_u32 s5, s22
	s_cselect_b32 s18, s15, s7
.LBB15_6:
	s_cmp_eq_u32 s6, s18
	s_waitcnt lgkmcnt(0)
	s_mul_hi_u32 s5, s6, s12
	s_cselect_b64 s[16:17], -1, 0
	s_add_i32 s5, s5, s6
	s_lshr_b32 s7, s5, s13
	s_mul_i32 s5, s7, s14
	s_cmp_eq_u32 s5, s6
	s_mul_hi_u32 s5, s18, s12
	s_cselect_b64 s[20:21], -1, 0
	s_add_i32 s5, s5, s18
	s_lshr_b32 s5, s5, s13
	s_cmp_eq_u32 s7, s5
	s_mul_i32 s5, s5, s14
	s_cselect_b64 s[24:25], -1, 0
	s_cmp_lg_u32 s5, s18
	s_cselect_b64 s[18:19], -1, 0
	s_and_b64 s[18:19], s[24:25], s[18:19]
	s_or_b64 s[16:17], s[16:17], s[20:21]
	s_or_b64 s[16:17], s[16:17], s[18:19]
	s_and_b64 vcc, exec, s[16:17]
	s_cbranch_vccnz .LBB15_23
; %bb.7:
	s_load_dwordx8 s[24:31], s[0:1], 0x20
	s_load_dword s15, s[0:1], 0x40
	s_waitcnt lgkmcnt(0)
	s_mul_hi_u32 s5, s6, s24
	s_add_i32 s5, s5, s6
	s_lshr_b32 s5, s5, s25
	s_mul_i32 s16, s5, s26
	s_sub_i32 s16, s6, s16
	s_mul_hi_u32 s17, s16, s27
	s_add_i32 s17, s16, s17
	s_lshr_b32 s20, s17, s28
	s_mul_i32 s17, s20, s29
	s_sub_i32 s16, s16, s17
	;; [unrolled: 5-line block ×3, first 2 shown]
	s_mul_hi_u32 s16, s15, s12
	s_add_i32 s15, s15, s16
	s_lshr_b32 s23, s15, s13
	s_lshl_b32 s15, s23, 1
	s_lshl_b32 s21, s17, 3
	s_add_i32 s15, s15, s3
	s_cmp_lt_i32 s15, s8
	s_cselect_b64 s[16:17], -1, 0
	s_add_i32 s15, s21, s4
	s_cmp_lt_i32 s15, s10
	s_cselect_b64 s[18:19], -1, 0
	s_and_b64 s[16:17], s[16:17], s[18:19]
	s_andn2_b64 vcc, exec, s[16:17]
	s_cbranch_vccnz .LBB15_23
; %bb.8:
	s_load_dwordx4 s[16:19], s[0:1], 0x0
	s_mov_b32 s0, 0
	s_lshl_b32 s15, s3, 3
	s_lshl_b32 s24, s22, 6
	s_mov_b32 s25, s0
	s_add_i32 s15, s15, s4
	s_waitcnt lgkmcnt(0)
	v_mov_b32_e32 v2, s16
	v_mov_b32_e32 v3, s17
	s_lshl_b64 s[16:17], s[24:25], 2
	s_add_u32 s16, s18, s16
	s_mul_i32 s1, s5, s8
	s_addc_u32 s17, s19, s17
	s_add_i32 s1, s1, s3
	s_mul_i32 s1, s1, s9
	s_mul_i32 s20, s20, s10
	s_add_i32 s1, s1, s4
	s_add_i32 s1, s1, s20
	s_mul_i32 s5, s9, s23
	s_add_i32 s1, s1, s21
	s_lshl_b32 s5, s5, 8
	s_lshl_b32 s1, s1, 7
	s_add_i32 s5, s5, s1
	v_or_b32_e32 v4, s5, v0
	v_ashrrev_i32_e32 v5, 31, v4
	v_lshl_add_u64 v[2:3], v[4:5], 2, v[2:3]
	global_load_dword v1, v[2:3], off
	v_cvt_f32_u32_e32 v4, s22
	s_lshl_b32 s1, s2, 4
	s_add_i32 s4, s15, s1
	s_ashr_i32 s5, s4, 31
	s_lshl_b64 s[4:5], s[4:5], 3
	v_rcp_iflag_f32_e32 v4, v4
	s_add_u32 s4, s18, s4
	s_addc_u32 s5, s19, s5
	s_load_dwordx2 s[4:5], s[4:5], 0x0
	v_mul_f32_e32 v4, 0x4f7ffffe, v4
	v_cvt_u32_f32_e32 v7, v4
	s_add_i32 s24, s2, -1
	v_lshl_or_b32 v6, s15, 7, v0
	s_waitcnt lgkmcnt(0)
	v_mov_b32_e32 v0, s5
	v_mov_b32_e32 v9, s4
	s_mov_b32 s10, 0x3fb8aa3b
	s_mov_b32 s20, 0xc2ce8ed0
	;; [unrolled: 1-line block ×4, first 2 shown]
	v_mov_b32_e32 v8, 0x7f800000
	s_mul_hi_i32 s1, s24, s11
	s_cmp_lg_u64 s[0:1], 0
	s_mul_i32 s8, s24, s11
	s_cbranch_scc0 .LBB15_19
.LBB15_9:
	s_add_u32 s2, s22, 0
	s_addc_u32 s3, 0, 0
	s_xor_b64 s[2:3], s[2:3], 0
	v_cvt_f32_u32_e32 v4, s2
	v_cvt_f32_u32_e32 v5, s3
	s_sub_u32 s9, 0, s2
	s_subb_u32 s25, 0, s3
	v_fmac_f32_e32 v4, 0x4f800000, v5
	v_rcp_f32_e32 v4, v4
	s_nop 0
	v_mul_f32_e32 v4, 0x5f7ffffc, v4
	v_mul_f32_e32 v5, 0x2f800000, v4
	v_trunc_f32_e32 v5, v5
	v_fmac_f32_e32 v4, 0xcf800000, v5
	v_cvt_u32_f32_e32 v5, v5
	v_cvt_u32_f32_e32 v4, v4
	v_readfirstlane_b32 s26, v5
	v_readfirstlane_b32 s4, v4
	s_mul_i32 s5, s9, s26
	s_mul_hi_u32 s28, s9, s4
	s_mul_i32 s27, s25, s4
	s_add_i32 s5, s28, s5
	s_mul_i32 s29, s9, s4
	s_add_i32 s5, s5, s27
	s_mul_i32 s28, s4, s5
	s_mul_hi_u32 s30, s4, s29
	s_mul_hi_u32 s27, s4, s5
	s_add_u32 s28, s30, s28
	s_addc_u32 s27, 0, s27
	s_mul_hi_u32 s31, s26, s29
	s_mul_i32 s29, s26, s29
	s_add_u32 s28, s28, s29
	s_mul_hi_u32 s30, s26, s5
	s_addc_u32 s27, s27, s31
	s_addc_u32 s28, s30, 0
	s_mul_i32 s5, s26, s5
	s_add_u32 s5, s27, s5
	s_addc_u32 s27, 0, s28
	s_add_u32 s28, s4, s5
	s_cselect_b64 s[4:5], -1, 0
	s_cmp_lg_u64 s[4:5], 0
	s_addc_u32 s26, s26, s27
	s_mul_i32 s4, s9, s26
	s_mul_hi_u32 s5, s9, s28
	s_add_i32 s4, s5, s4
	s_mul_i32 s25, s25, s28
	s_add_i32 s4, s4, s25
	s_mul_i32 s9, s9, s28
	s_mul_hi_u32 s25, s26, s9
	s_mul_i32 s27, s26, s9
	s_mul_i32 s30, s28, s4
	s_mul_hi_u32 s9, s28, s9
	s_mul_hi_u32 s29, s28, s4
	s_add_u32 s9, s9, s30
	s_addc_u32 s29, 0, s29
	s_add_u32 s9, s9, s27
	s_mul_hi_u32 s5, s26, s4
	s_addc_u32 s9, s29, s25
	s_addc_u32 s5, s5, 0
	s_mul_i32 s4, s26, s4
	s_add_u32 s4, s9, s4
	s_addc_u32 s9, 0, s5
	s_add_u32 s25, s28, s4
	s_cselect_b64 s[4:5], -1, 0
	s_cmp_lg_u64 s[4:5], 0
	s_addc_u32 s9, s26, s9
	s_ashr_i32 s4, s1, 31
	s_add_u32 s26, s8, s4
	s_mov_b32 s5, s4
	s_addc_u32 s27, s1, s4
	s_xor_b64 s[26:27], s[26:27], s[4:5]
	s_mul_i32 s28, s26, s9
	s_mul_hi_u32 s29, s26, s25
	s_mul_hi_u32 s1, s26, s9
	s_add_u32 s28, s29, s28
	s_addc_u32 s1, 0, s1
	s_mul_hi_u32 s30, s27, s25
	s_mul_i32 s25, s27, s25
	s_add_u32 s25, s28, s25
	s_mul_hi_u32 s29, s27, s9
	s_addc_u32 s1, s1, s30
	s_addc_u32 s25, s29, 0
	s_mul_i32 s9, s27, s9
	s_add_u32 s1, s1, s9
	s_addc_u32 s9, 0, s25
	s_mul_i32 s25, s2, s9
	s_mul_hi_u32 s28, s2, s1
	s_add_i32 s25, s28, s25
	s_mul_i32 s28, s3, s1
	s_add_i32 s25, s25, s28
	s_sub_i32 s30, s27, s25
	s_mul_i32 s28, s2, s1
	s_sub_u32 s26, s26, s28
	s_cselect_b64 s[28:29], -1, 0
	s_cmp_lg_u64 s[28:29], 0
	s_subb_u32 s33, s30, s3
	s_sub_u32 s34, s26, s2
	s_cselect_b64 s[30:31], -1, 0
	s_cmp_lg_u64 s[30:31], 0
	s_subb_u32 s30, s33, 0
	s_cmp_ge_u32 s30, s3
	s_cselect_b32 s31, -1, 0
	s_cmp_ge_u32 s34, s2
	s_cselect_b32 s33, -1, 0
	s_cmp_eq_u32 s30, s3
	s_cselect_b32 s30, s33, s31
	s_add_u32 s31, s1, 1
	s_addc_u32 s33, s9, 0
	s_add_u32 s34, s1, 2
	s_addc_u32 s35, s9, 0
	s_cmp_lg_u32 s30, 0
	s_cselect_b32 s30, s34, s31
	s_cselect_b32 s31, s35, s33
	s_cmp_lg_u64 s[28:29], 0
	s_subb_u32 s25, s27, s25
	s_cmp_ge_u32 s25, s3
	s_cselect_b32 s27, -1, 0
	s_cmp_ge_u32 s26, s2
	s_cselect_b32 s2, -1, 0
	s_cmp_eq_u32 s25, s3
	s_cselect_b32 s2, s2, s27
	s_cmp_lg_u32 s2, 0
	s_cselect_b32 s3, s31, s9
	s_cselect_b32 s2, s30, s1
	s_xor_b64 s[4:5], s[4:5], 0
	s_xor_b64 s[2:3], s[2:3], s[4:5]
	s_sub_u32 s4, s2, s4
	s_cbranch_execnz .LBB15_11
.LBB15_10:
	s_sub_i32 s1, 0, s22
	v_readfirstlane_b32 s2, v7
	s_mul_i32 s1, s1, s2
	s_mul_hi_u32 s1, s2, s1
	s_add_i32 s2, s2, s1
	s_mul_hi_u32 s1, s8, s2
	s_mul_i32 s3, s1, s22
	s_sub_i32 s3, s8, s3
	s_add_i32 s2, s1, 1
	s_sub_i32 s4, s3, s22
	s_cmp_ge_u32 s3, s22
	s_cselect_b32 s1, s2, s1
	s_cselect_b32 s3, s4, s3
	s_add_i32 s2, s1, 1
	s_cmp_ge_u32 s3, s22
	s_cselect_b32 s4, s2, s1
.LBB15_11:
	s_cmp_lg_u32 s6, s4
	s_cbranch_scc0 .LBB15_15
; %bb.12:
	s_add_i32 s1, s24, s22
	s_lshl_b32 s1, s1, 4
	s_add_i32 s2, s1, s15
	s_mov_b32 s3, s0
	s_lshl_b64 s[2:3], s[2:3], 3
	s_add_u32 s8, s18, s2
	s_mul_hi_u32 s1, s4, s12
	s_addc_u32 s9, s19, s3
	s_add_i32 s1, s1, s4
	s_lshr_b32 s1, s1, s13
	s_mul_i32 s2, s1, s14
	s_cmp_eq_u32 s2, s4
	s_cselect_b64 s[2:3], -1, 0
	s_cmp_lt_u32 s1, s7
	s_cselect_b64 s[26:27], -1, 0
	s_or_b64 s[26:27], s[26:27], s[2:3]
	s_mov_b64 s[2:3], -1
	s_and_b64 vcc, exec, s[26:27]
	s_mov_b32 s1, s24
	s_mov_b32 s25, s6
	s_cbranch_vccnz .LBB15_14
; %bb.13:
	s_add_i32 s1, s24, -1
	s_mov_b64 s[2:3], 0
	s_mov_b32 s25, s4
.LBB15_14:
	v_lshl_add_u32 v4, s24, 11, v6
	v_ashrrev_i32_e32 v5, 31, v4
	v_lshl_add_u64 v[4:5], v[4:5], 2, s[16:17]
	global_load_dword v5, v[4:5], off
	s_load_dwordx2 s[4:5], s[8:9], 0x0
	v_max_f32_e32 v4, v9, v9
	s_waitcnt lgkmcnt(0)
	v_max_f32_e64 v10, s4, s4
	v_max_f32_e32 v10, v4, v10
	v_sub_f32_e32 v11, v9, v10
	v_sub_f32_e32 v13, s4, v10
	v_mul_f32_e32 v4, 0x3fb8aa3b, v11
	v_mul_f32_e32 v12, 0x3fb8aa3b, v13
	v_fma_f32 v14, v11, s10, -v4
	v_rndne_f32_e32 v15, v4
	v_fma_f32 v16, v13, s10, -v12
	v_rndne_f32_e32 v17, v12
	v_fmac_f32_e32 v14, 0x32a5705f, v11
	v_sub_f32_e32 v4, v4, v15
	v_fmac_f32_e32 v16, 0x32a5705f, v13
	v_sub_f32_e32 v12, v12, v17
	v_add_f32_e32 v4, v4, v14
	v_cvt_i32_f32_e32 v15, v15
	v_add_f32_e32 v12, v12, v16
	v_exp_f32_e32 v14, v4
	v_cvt_i32_f32_e32 v17, v17
	v_exp_f32_e32 v12, v12
	v_cmp_ngt_f32_e32 vcc, s20, v11
	v_ldexp_f32 v14, v14, v15
	v_mov_b32_e32 v4, s5
	v_ldexp_f32 v12, v12, v17
	v_cndmask_b32_e32 v14, 0, v14, vcc
	v_cmp_ngt_f32_e32 vcc, s20, v13
	s_nop 1
	v_cndmask_b32_e32 v12, 0, v12, vcc
	v_cmp_nlt_f32_e32 vcc, s21, v11
	s_nop 1
	v_cndmask_b32_e32 v14, v8, v14, vcc
	v_cmp_nlt_f32_e32 vcc, s21, v13
	s_nop 1
	v_cndmask_b32_e32 v15, v8, v12, vcc
	v_cmp_le_f32_e32 vcc, s23, v11
	s_nop 1
	v_cndmask_b32_e32 v12, 0, v14, vcc
	v_cmp_le_f32_e32 vcc, s23, v13
	s_nop 1
	v_cndmask_b32_e32 v14, 0, v15, vcc
	s_waitcnt vmcnt(0)
	v_pk_mul_f32 v[4:5], v[4:5], v[14:15] op_sel_hi:[1,0]
	s_nop 0
	v_pk_fma_f32 v[4:5], v[0:1], v[12:13], v[4:5] op_sel_hi:[1,0,1]
	s_cbranch_execz .LBB15_16
	s_branch .LBB15_17
.LBB15_15:
                                        ; implicit-def: $vgpr4_vgpr5
                                        ; implicit-def: $sgpr2_sgpr3
                                        ; implicit-def: $vgpr10
                                        ; implicit-def: $sgpr1
                                        ; implicit-def: $sgpr25
.LBB15_16:
	s_add_i32 s1, s24, -1
	s_mov_b64 s[2:3], 0
	s_mov_b32 s25, s6
	v_mov_b32_e32 v10, v9
	s_waitcnt vmcnt(0)
	v_mov_b64_e32 v[4:5], v[0:1]
.LBB15_17:
	s_andn2_b64 vcc, exec, s[2:3]
	s_cbranch_vccz .LBB15_22
; %bb.18:
	s_mov_b32 s6, s25
	s_mov_b32 s24, s1
	v_mov_b32_e32 v9, v10
	s_waitcnt vmcnt(0)
	v_mov_b64_e32 v[0:1], v[4:5]
	s_mul_hi_i32 s1, s24, s11
	s_cmp_lg_u64 s[0:1], 0
	s_mul_i32 s8, s24, s11
	s_cbranch_scc1 .LBB15_9
.LBB15_19:
                                        ; implicit-def: $sgpr4_sgpr5
	s_branch .LBB15_10
.LBB15_20:
                                        ; implicit-def: $sgpr6_sgpr7
	s_load_dwordx4 s[12:15], s[0:1], 0x44
	s_branch .LBB15_2
.LBB15_21:
                                        ; implicit-def: $sgpr18_sgpr19
	s_branch .LBB15_5
.LBB15_22:
	v_div_scale_f32 v0, s[0:1], v4, v4, v5
	s_waitcnt vmcnt(0)
	v_rcp_f32_e32 v1, v0
	v_div_scale_f32 v6, vcc, v5, v4, v5
	v_fma_f32 v7, -v0, v1, 1.0
	v_fmac_f32_e32 v1, v7, v1
	v_mul_f32_e32 v7, v6, v1
	v_fma_f32 v8, -v0, v7, v6
	v_fmac_f32_e32 v7, v8, v1
	v_fma_f32 v0, -v0, v7, v6
	v_div_fmas_f32 v0, v0, v1, v7
	v_div_fixup_f32 v0, v0, v4, v5
	global_store_dword v[2:3], v0, off
.LBB15_23:
	s_endpgm
	.section	.rodata,"a",@progbits
	.p2align	6, 0x0
	.amdhsa_kernel _ZL33flash_attn_stream_k_fixup_generalILi128ELi2ELi8EEvPfPK15HIP_vector_typeIfLj2EEiiiiS1_IjLj3EES5_S5_S5_
		.amdhsa_group_segment_fixed_size 0
		.amdhsa_private_segment_fixed_size 0
		.amdhsa_kernarg_size 336
		.amdhsa_user_sgpr_count 2
		.amdhsa_user_sgpr_dispatch_ptr 0
		.amdhsa_user_sgpr_queue_ptr 0
		.amdhsa_user_sgpr_kernarg_segment_ptr 1
		.amdhsa_user_sgpr_dispatch_id 0
		.amdhsa_user_sgpr_kernarg_preload_length 0
		.amdhsa_user_sgpr_kernarg_preload_offset 0
		.amdhsa_user_sgpr_private_segment_size 0
		.amdhsa_uses_dynamic_stack 0
		.amdhsa_enable_private_segment 0
		.amdhsa_system_sgpr_workgroup_id_x 1
		.amdhsa_system_sgpr_workgroup_id_y 1
		.amdhsa_system_sgpr_workgroup_id_z 1
		.amdhsa_system_sgpr_workgroup_info 0
		.amdhsa_system_vgpr_workitem_id 0
		.amdhsa_next_free_vgpr 18
		.amdhsa_next_free_sgpr 36
		.amdhsa_accum_offset 20
		.amdhsa_reserve_vcc 1
		.amdhsa_float_round_mode_32 0
		.amdhsa_float_round_mode_16_64 0
		.amdhsa_float_denorm_mode_32 3
		.amdhsa_float_denorm_mode_16_64 3
		.amdhsa_dx10_clamp 1
		.amdhsa_ieee_mode 1
		.amdhsa_fp16_overflow 0
		.amdhsa_tg_split 0
		.amdhsa_exception_fp_ieee_invalid_op 0
		.amdhsa_exception_fp_denorm_src 0
		.amdhsa_exception_fp_ieee_div_zero 0
		.amdhsa_exception_fp_ieee_overflow 0
		.amdhsa_exception_fp_ieee_underflow 0
		.amdhsa_exception_fp_ieee_inexact 0
		.amdhsa_exception_int_div_zero 0
	.end_amdhsa_kernel
	.section	.text._ZL33flash_attn_stream_k_fixup_generalILi128ELi2ELi8EEvPfPK15HIP_vector_typeIfLj2EEiiiiS1_IjLj3EES5_S5_S5_,"axG",@progbits,_ZL33flash_attn_stream_k_fixup_generalILi128ELi2ELi8EEvPfPK15HIP_vector_typeIfLj2EEiiiiS1_IjLj3EES5_S5_S5_,comdat
.Lfunc_end15:
	.size	_ZL33flash_attn_stream_k_fixup_generalILi128ELi2ELi8EEvPfPK15HIP_vector_typeIfLj2EEiiiiS1_IjLj3EES5_S5_S5_, .Lfunc_end15-_ZL33flash_attn_stream_k_fixup_generalILi128ELi2ELi8EEvPfPK15HIP_vector_typeIfLj2EEiiiiS1_IjLj3EES5_S5_S5_
                                        ; -- End function
	.set _ZL33flash_attn_stream_k_fixup_generalILi128ELi2ELi8EEvPfPK15HIP_vector_typeIfLj2EEiiiiS1_IjLj3EES5_S5_S5_.num_vgpr, 18
	.set _ZL33flash_attn_stream_k_fixup_generalILi128ELi2ELi8EEvPfPK15HIP_vector_typeIfLj2EEiiiiS1_IjLj3EES5_S5_S5_.num_agpr, 0
	.set _ZL33flash_attn_stream_k_fixup_generalILi128ELi2ELi8EEvPfPK15HIP_vector_typeIfLj2EEiiiiS1_IjLj3EES5_S5_S5_.numbered_sgpr, 36
	.set _ZL33flash_attn_stream_k_fixup_generalILi128ELi2ELi8EEvPfPK15HIP_vector_typeIfLj2EEiiiiS1_IjLj3EES5_S5_S5_.num_named_barrier, 0
	.set _ZL33flash_attn_stream_k_fixup_generalILi128ELi2ELi8EEvPfPK15HIP_vector_typeIfLj2EEiiiiS1_IjLj3EES5_S5_S5_.private_seg_size, 0
	.set _ZL33flash_attn_stream_k_fixup_generalILi128ELi2ELi8EEvPfPK15HIP_vector_typeIfLj2EEiiiiS1_IjLj3EES5_S5_S5_.uses_vcc, 1
	.set _ZL33flash_attn_stream_k_fixup_generalILi128ELi2ELi8EEvPfPK15HIP_vector_typeIfLj2EEiiiiS1_IjLj3EES5_S5_S5_.uses_flat_scratch, 0
	.set _ZL33flash_attn_stream_k_fixup_generalILi128ELi2ELi8EEvPfPK15HIP_vector_typeIfLj2EEiiiiS1_IjLj3EES5_S5_S5_.has_dyn_sized_stack, 0
	.set _ZL33flash_attn_stream_k_fixup_generalILi128ELi2ELi8EEvPfPK15HIP_vector_typeIfLj2EEiiiiS1_IjLj3EES5_S5_S5_.has_recursion, 0
	.set _ZL33flash_attn_stream_k_fixup_generalILi128ELi2ELi8EEvPfPK15HIP_vector_typeIfLj2EEiiiiS1_IjLj3EES5_S5_S5_.has_indirect_call, 0
	.section	.AMDGPU.csdata,"",@progbits
; Kernel info:
; codeLenInByte = 2940
; TotalNumSgprs: 42
; NumVgprs: 18
; NumAgprs: 0
; TotalNumVgprs: 18
; ScratchSize: 0
; MemoryBound: 0
; FloatMode: 240
; IeeeMode: 1
; LDSByteSize: 0 bytes/workgroup (compile time only)
; SGPRBlocks: 5
; VGPRBlocks: 2
; NumSGPRsForWavesPerEU: 42
; NumVGPRsForWavesPerEU: 18
; AccumOffset: 20
; Occupancy: 8
; WaveLimiterHint : 0
; COMPUTE_PGM_RSRC2:SCRATCH_EN: 0
; COMPUTE_PGM_RSRC2:USER_SGPR: 2
; COMPUTE_PGM_RSRC2:TRAP_HANDLER: 0
; COMPUTE_PGM_RSRC2:TGID_X_EN: 1
; COMPUTE_PGM_RSRC2:TGID_Y_EN: 1
; COMPUTE_PGM_RSRC2:TGID_Z_EN: 1
; COMPUTE_PGM_RSRC2:TIDIG_COMP_CNT: 0
; COMPUTE_PGM_RSRC3_GFX90A:ACCUM_OFFSET: 4
; COMPUTE_PGM_RSRC3_GFX90A:TG_SPLIT: 0
	.section	.text._ZL15flash_attn_tileILi192ELi128ELi1ELi8ELb0EEvPKcS1_S1_S1_S1_PKiPfP15HIP_vector_typeIfLj2EEffffjfiS5_IjLj3EEiiiiiiiiiiiliiliiiiil,"axG",@progbits,_ZL15flash_attn_tileILi192ELi128ELi1ELi8ELb0EEvPKcS1_S1_S1_S1_PKiPfP15HIP_vector_typeIfLj2EEffffjfiS5_IjLj3EEiiiiiiiiiiiliiliiiiil,comdat
	.globl	_ZL15flash_attn_tileILi192ELi128ELi1ELi8ELb0EEvPKcS1_S1_S1_S1_PKiPfP15HIP_vector_typeIfLj2EEffffjfiS5_IjLj3EEiiiiiiiiiiiliiliiiiil ; -- Begin function _ZL15flash_attn_tileILi192ELi128ELi1ELi8ELb0EEvPKcS1_S1_S1_S1_PKiPfP15HIP_vector_typeIfLj2EEffffjfiS5_IjLj3EEiiiiiiiiiiiliiliiiiil
	.p2align	8
	.type	_ZL15flash_attn_tileILi192ELi128ELi1ELi8ELb0EEvPKcS1_S1_S1_S1_PKiPfP15HIP_vector_typeIfLj2EEffffjfiS5_IjLj3EEiiiiiiiiiiiliiliiiiil,@function
_ZL15flash_attn_tileILi192ELi128ELi1ELi8ELb0EEvPKcS1_S1_S1_S1_PKiPfP15HIP_vector_typeIfLj2EEffffjfiS5_IjLj3EEiiiiiiiiiiiliiliiiiil: ; @_ZL15flash_attn_tileILi192ELi128ELi1ELi8ELb0EEvPKcS1_S1_S1_S1_PKiPfP15HIP_vector_typeIfLj2EEffffjfiS5_IjLj3EEiiiiiiiiiiiliiliiiiil
; %bb.0:
	s_load_dwordx4 s[20:23], s[0:1], 0x5c
	s_load_dwordx2 s[28:29], s[0:1], 0x80
	s_load_dwordx2 s[34:35], s[0:1], 0xb8
	s_mov_b64 s[30:31], 0
	s_waitcnt lgkmcnt(0)
	s_ashr_i32 s5, s23, 31
	s_lshr_b32 s5, s5, 29
	s_add_i32 s5, s23, s5
	s_ashr_i32 s5, s5, 3
	v_cvt_f32_u32_e32 v1, s5
	s_sub_i32 s6, 0, s5
	v_rcp_iflag_f32_e32 v1, v1
	s_nop 0
	v_mul_f32_e32 v1, 0x4f7ffffe, v1
	v_cvt_u32_f32_e32 v1, v1
	s_nop 0
	v_readfirstlane_b32 s7, v1
	s_mul_i32 s6, s6, s7
	s_mul_hi_u32 s6, s7, s6
	s_add_i32 s7, s7, s6
	s_mul_hi_u32 s6, s4, s7
	s_mul_i32 s7, s6, s5
	s_sub_i32 s7, s4, s7
	s_add_i32 s8, s6, 1
	s_sub_i32 s9, s7, s5
	s_cmp_ge_u32 s7, s5
	s_cselect_b32 s6, s8, s6
	s_cselect_b32 s7, s9, s7
	s_add_i32 s8, s6, 1
	s_cmp_ge_u32 s7, s5
	s_cselect_b32 s33, s8, s6
	s_abs_i32 s5, s29
	v_cvt_f32_u32_e32 v1, s5
	s_lshl_b32 s4, s4, 3
	s_mul_i32 s8, s33, s23
	s_xor_b32 s6, s23, s29
	v_rcp_iflag_f32_e32 v1, v1
	s_sub_i32 s9, 0, s5
	s_sub_i32 s29, s4, s8
	s_abs_i32 s7, s23
	v_mul_f32_e32 v1, 0x4f7ffffe, v1
	v_cvt_u32_f32_e32 v1, v1
	s_ashr_i32 s6, s6, 31
	v_readfirstlane_b32 s4, v1
	s_mul_i32 s9, s9, s4
	s_mul_hi_u32 s8, s4, s9
	s_add_i32 s4, s4, s8
	s_mul_hi_u32 s4, s7, s4
	s_mul_i32 s8, s4, s5
	s_sub_i32 s7, s7, s8
	s_add_i32 s9, s4, 1
	s_sub_i32 s8, s7, s5
	s_cmp_ge_u32 s7, s5
	s_cselect_b32 s4, s9, s4
	s_cselect_b32 s7, s8, s7
	s_add_i32 s8, s4, 1
	s_cmp_ge_u32 s7, s5
	s_cselect_b32 s4, s8, s4
	s_xor_b32 s4, s4, s6
	s_sub_i32 s37, s4, s6
	s_abs_i32 s36, s37
	v_cvt_f32_u32_e32 v1, s36
	s_load_dwordx16 s[4:19], s[0:1], 0x0
	v_rcp_iflag_f32_e32 v1, v1
	s_waitcnt lgkmcnt(0)
	s_cmp_eq_u64 s[10:11], 0
	v_mul_f32_e32 v1, 0x4f7ffffe, v1
	v_cvt_u32_f32_e32 v1, v1
	s_nop 0
	v_readfirstlane_b32 s38, v1
	s_cbranch_scc1 .LBB16_2
; %bb.1:
	s_abs_i32 s26, s34
	v_cvt_f32_u32_e32 v1, s26
	s_sub_i32 s31, 0, s26
	s_abs_i32 s30, s33
	s_ashr_i32 s27, s33, 31
	v_rcp_iflag_f32_e32 v1, v1
	s_load_dwordx2 s[24:25], s[0:1], 0xc8
	v_mul_f32_e32 v1, 0x4f7ffffe, v1
	v_cvt_u32_f32_e32 v1, v1
	s_nop 0
	v_readfirstlane_b32 s34, v1
	s_mul_i32 s31, s31, s34
	s_mul_hi_u32 s31, s34, s31
	s_add_i32 s34, s34, s31
	s_mul_hi_u32 s31, s30, s34
	s_mul_i32 s31, s31, s26
	s_sub_i32 s30, s30, s31
	s_sub_i32 s31, s30, s26
	s_cmp_ge_u32 s30, s26
	s_cselect_b32 s30, s31, s30
	s_sub_i32 s31, s30, s26
	s_cmp_ge_u32 s30, s26
	s_cselect_b32 s26, s31, s30
	s_xor_b32 s26, s26, s27
	s_sub_i32 s26, s26, s27
	s_ashr_i32 s27, s26, 31
	s_waitcnt lgkmcnt(0)
	s_mul_hi_u32 s30, s24, s26
	s_mul_i32 s27, s24, s27
	s_mul_i32 s25, s25, s26
	s_add_i32 s27, s30, s27
	s_add_i32 s27, s27, s25
	s_mul_i32 s24, s24, s26
	s_add_u32 s30, s10, s24
	s_addc_u32 s31, s11, s27
.LBB16_2:
	s_load_dwordx4 s[24:27], s[0:1], 0x70
	v_lshrrev_b32_e32 v1, 10, v0
	v_bfe_u32 v1, v1, 3, 7
	v_add_u32_e32 v9, s2, v1
	v_bfe_u32 v30, v0, 10, 3
	s_waitcnt lgkmcnt(0)
	s_mul_i32 s10, s33, s26
	s_ashr_i32 s26, s10, 31
	s_mul_i32 s11, s29, s25
	s_add_u32 s4, s4, s10
	s_addc_u32 s5, s5, s26
	s_ashr_i32 s10, s11, 31
	s_add_u32 s4, s4, s11
	s_addc_u32 s5, s5, s10
	s_ashr_i32 s11, s25, 31
	s_mov_b32 s10, s25
	s_lshr_b64 s[26:27], s[10:11], 2
	v_mul_hi_u32 v1, s20, v9
	s_lshr_b32 s25, s11, 2
	v_mad_u64_u32 v[2:3], s[10:11], s26, v30, 0
	v_add_u32_e32 v1, v9, v1
	v_mov_b32_e32 v4, v3
	v_lshrrev_b32_e32 v1, s21, v1
	v_mad_u64_u32 v[4:5], s[10:11], s25, v30, v[4:5]
	v_mul_lo_u32 v1, v1, s22
	s_ashr_i32 s25, s24, 31
	v_sub_u32_e32 v1, v9, v1
	s_lshr_b64 s[10:11], s[24:25], 2
	v_mov_b32_e32 v3, v4
	v_mad_u64_u32 v[4:5], s[10:11], s10, v1, 0
	v_mov_b32_e32 v6, v5
	s_lshr_b32 s10, s25, 2
	v_mad_u64_u32 v[6:7], s[10:11], s10, v1, v[6:7]
	v_and_b32_e32 v8, 0x3ff, v0
	v_mov_b32_e32 v5, v6
	v_lshl_add_u64 v[2:3], v[2:3], 2, s[4:5]
	v_lshl_add_u64 v[2:3], v[4:5], 2, v[2:3]
	v_lshlrev_b32_e32 v4, 4, v8
	v_mov_b32_e32 v5, 0
	v_lshl_add_u64 v[2:3], v[2:3], 0, v[4:5]
	global_load_dwordx4 v[10:13], v[2:3], off
	s_load_dword s4, s[0:1], 0x40
	s_movk_i32 s5, 0x180
	v_bfe_u32 v0, v0, 10, 10
	v_mov_b32_e32 v4, 0x2400
	v_mad_u32_u24 v32, v0, s5, v4
	v_lshlrev_b32_e32 v33, 3, v8
	v_add_u32_e32 v4, v32, v33
	v_cmp_gt_u32_e32 vcc, 16, v8
	s_waitcnt vmcnt(0) lgkmcnt(0)
	v_fma_mixlo_f16 v5, s4, v10, 0
	v_fma_mixlo_f16 v6, s4, v12, 0
	v_mov_b32_e32 v10, v13
	v_and_b32_e32 v12, 0xffff, v6
	v_pk_mul_f32 v[6:7], s[4:5], v[10:11] op_sel_hi:[0,1]
	v_cvt_pk_f16_f32 v6, v6, v7
	v_and_b32_e32 v5, 0xffff, v5
	v_lshlrev_b32_e32 v7, 16, v6
	v_and_b32_e32 v6, 0xffff0000, v6
	v_or_b32_e32 v5, v6, v5
	v_or3_b32 v7, v7, v12, 0
	v_or3_b32 v6, 0, 0, v5
	ds_write_b64 v4, v[6:7]
	s_and_saveexec_b64 s[10:11], vcc
	s_cbranch_execz .LBB16_4
; %bb.3:
	global_load_dwordx4 v[10:13], v[2:3], off offset:512
	s_mov_b32 s5, s4
	s_waitcnt vmcnt(0)
	v_fma_mixlo_f16 v2, s4, v10, 0
	v_fma_mixlo_f16 v3, s4, v12, 0
	v_mov_b32_e32 v10, v13
	v_and_b32_e32 v5, 0xffff, v2
	v_and_b32_e32 v6, 0xffff, v3
	v_pk_mul_f32 v[2:3], s[4:5], v[10:11]
	s_nop 0
	v_cvt_pk_f16_f32 v2, v2, v3
	v_lshlrev_b32_e32 v3, 16, v2
	v_and_b32_e32 v2, 0xffff0000, v2
	v_or_b32_e32 v2, v2, v5
	v_or3_b32 v3, v3, v6, 0
	v_or3_b32 v2, 0, 0, v2
	ds_write_b64 v4, v[2:3] offset:256
.LBB16_4:
	s_or_b64 exec, exec, s[10:11]
	s_cmp_eq_u64 s[14:15], 0
	s_waitcnt lgkmcnt(0)
	s_barrier
	s_cbranch_scc1 .LBB16_6
; %bb.5:
	s_load_dword s4, s[0:1], 0xd0
	s_mov_b32 s5, 0
	s_waitcnt lgkmcnt(0)
	s_mul_i32 s4, s4, s33
	s_add_i32 s4, s4, s2
	s_lshl_b64 s[4:5], s[4:5], 2
	s_add_u32 s4, s14, s4
	s_addc_u32 s5, s15, s5
	s_load_dword s28, s[4:5], 0x0
.LBB16_6:
	s_lshl_b32 s2, s3, 6
	s_waitcnt lgkmcnt(0)
	s_cmp_lt_i32 s2, s28
	v_mbcnt_lo_u32_b32 v2, -1, 0
	s_cbranch_scc1 .LBB16_9
; %bb.7:
	v_mbcnt_hi_u32_b32 v17, -1, v2
	v_and_b32_e32 v3, 0x60, v17
	v_add_u32_e32 v34, 32, v3
	v_xor_b32_e32 v39, 16, v17
	v_xor_b32_e32 v38, 8, v17
	;; [unrolled: 1-line block ×5, first 2 shown]
	v_lshlrev_b32_e32 v31, 2, v8
	s_cbranch_execz .LBB16_10
; %bb.8:
	v_mov_b32_e32 v51, 0
	v_mov_b32_e32 v29, 0
	;; [unrolled: 1-line block ×4, first 2 shown]
	s_branch .LBB16_12
.LBB16_9:
                                        ; implicit-def: $vgpr17
                                        ; implicit-def: $vgpr34
                                        ; implicit-def: $vgpr39
                                        ; implicit-def: $vgpr38
                                        ; implicit-def: $vgpr37
                                        ; implicit-def: $vgpr35
                                        ; implicit-def: $vgpr36
	v_lshlrev_b32_e32 v31, 2, v8
.LBB16_10:
	s_sub_i32 s4, 0, s36
	s_mul_i32 s4, s4, s38
	s_mul_hi_u32 s4, s38, s4
	s_add_i32 s38, s38, s4
	s_load_dwordx2 s[4:5], s[0:1], 0x8c
	s_load_dwordx4 s[24:27], s[0:1], 0x98
	s_abs_i32 s14, s29
	s_mul_hi_u32 s15, s14, s38
	s_ashr_i32 s34, s29, 31
	s_waitcnt lgkmcnt(0)
	s_ashr_i32 s11, s4, 2
	s_ashr_i32 s4, s33, 31
	;; [unrolled: 1-line block ×4, first 2 shown]
	s_mul_hi_u32 s35, s24, s33
	s_mul_i32 s38, s24, s4
	s_add_i32 s35, s35, s38
	s_mul_i32 s25, s25, s33
	s_ashr_i32 s37, s37, 31
	s_add_i32 s35, s35, s25
	s_mul_i32 s24, s24, s33
	s_add_u32 s6, s6, s24
	s_mul_i32 s25, s15, s36
	s_addc_u32 s7, s7, s35
	s_sub_i32 s14, s14, s25
	s_xor_b32 s24, s34, s37
	s_add_i32 s25, s15, 1
	s_sub_i32 s34, s14, s36
	s_cmp_ge_u32 s14, s36
	s_cselect_b32 s15, s25, s15
	s_cselect_b32 s14, s34, s14
	s_add_i32 s25, s15, 1
	s_cmp_ge_u32 s14, s36
	s_load_dwordx2 s[20:21], s[0:1], 0xa8
	s_cselect_b32 s14, s25, s15
	s_xor_b32 s14, s14, s24
	s_sub_i32 s24, s14, s24
	s_mul_i32 s5, s24, s5
	s_ashr_i32 s15, s5, 31
	s_add_u32 s14, s6, s5
	s_waitcnt lgkmcnt(0)
	s_mul_hi_u32 s5, s20, s33
	s_mul_i32 s4, s20, s4
	s_addc_u32 s15, s7, s15
	s_add_i32 s4, s5, s4
	s_mul_i32 s5, s21, s33
	s_add_i32 s4, s4, s5
	s_mul_i32 s5, s20, s33
	s_add_u32 s5, s8, s5
	s_mul_i32 s24, s24, s27
	s_addc_u32 s4, s9, s4
	s_ashr_i32 s6, s24, 31
	s_add_u32 s20, s5, s24
	v_lshrrev_b32_e32 v3, 3, v8
	v_and_b32_e32 v4, 28, v31
	s_addc_u32 s21, s4, s6
	v_lshl_add_u32 v3, v0, 2, v3
	v_lshlrev_b32_e32 v5, 2, v4
	s_movk_i32 s4, 0x90
	v_mad_u32_u24 v40, v3, s4, v5
	v_mad_u64_u32 v[16:17], s[4:5], v1, s26, v[8:9]
	v_mov_b32_e32 v1, 0x3000
	v_lshl_add_u32 v43, v0, 7, v1
	v_lshrrev_b32_e32 v1, 4, v8
	v_lshl_add_u32 v0, v0, 1, v1
	v_and_b32_e32 v6, 60, v31
	v_mul_lo_u32 v18, s10, v0
	v_mul_lo_u32 v12, s11, v3
	v_lshlrev_b32_e32 v1, 2, v6
	v_lshl_add_u32 v22, s10, 4, v18
	v_mbcnt_hi_u32_b32 v17, -1, v2
	v_mov_b32_e32 v11, 0
	v_lshl_add_u32 v14, s11, 5, v12
	v_lshl_or_b32 v45, v0, 8, v1
	v_ashrrev_i32_e32 v19, 31, v18
	v_ashrrev_i32_e32 v23, 31, v22
	s_add_u32 s8, s0, 0xd0
	v_and_b32_e32 v1, 0x60, v17
	v_ashrrev_i32_e32 v13, 31, v12
	v_add_u32_e32 v41, 0x1200, v40
	v_ashrrev_i32_e32 v15, 31, v14
	v_mul_u32_u24_e32 v42, 0x90, v8
	v_lshl_add_u32 v44, v8, 1, v43
	v_add_u32_e32 v46, 0x1000, v45
	s_addc_u32 s9, s1, 0
	v_mov_b32_e32 v0, 0xfeffffff
	v_lshlrev_b32_e32 v10, 2, v4
	v_add_u32_e32 v34, 32, v1
	v_xor_b32_e32 v39, 16, v17
	v_xor_b32_e32 v38, 8, v17
	;; [unrolled: 1-line block ×5, first 2 shown]
	s_mov_b32 s24, 0x3fb8aa3b
	s_mov_b32 s25, 0xc2ce8ed0
	;; [unrolled: 1-line block ×3, first 2 shown]
	v_mov_b32_e32 v47, 0x7f800000
	s_mov_b32 s27, 0x10001
	v_lshlrev_b64 v[18:19], 2, v[18:19]
	v_lshlrev_b32_e32 v20, 2, v6
	v_mov_b32_e32 v21, v11
	v_lshlrev_b64 v[22:23], 2, v[22:23]
	v_add_u32_e32 v48, 0x800, v33
	v_add_u32_e32 v49, 0x1000, v33
	;; [unrolled: 1-line block ×3, first 2 shown]
	v_mov_b32_e32 v52, v11
	v_mov_b32_e32 v51, v11
	v_mov_b32_e32 v29, v11
.LBB16_11:                              ; =>This Inner Loop Header: Depth=1
	s_mul_hi_i32 s5, s2, s11
	s_mul_i32 s4, s2, s11
	s_lshl_b64 s[4:5], s[4:5], 2
	s_add_u32 s4, s14, s4
	s_addc_u32 s5, s15, s5
	v_mov_b32_e32 v53, v0
	v_lshl_add_u64 v[0:1], v[12:13], 2, s[4:5]
	v_lshl_add_u64 v[2:3], v[14:15], 2, s[4:5]
	;; [unrolled: 1-line block ×4, first 2 shown]
	global_load_dwordx4 v[0:3], v[24:25], off
	global_load_dwordx4 v[4:7], v[26:27], off
	v_mov_b32_e32 v54, 0
	v_mov_b32_e32 v55, 0
	v_add_u32_e32 v28, s2, v16
	s_mul_hi_i32 s5, s2, s10
	s_mul_i32 s4, s2, s10
	s_lshl_b64 s[4:5], s[4:5], 2
	s_add_u32 s4, s20, s4
	v_cmp_lt_i32_e32 vcc, v39, v34
	s_addc_u32 s5, s21, s5
	s_or_b32 s6, s2, 32
	v_cndmask_b32_e32 v60, v17, v39, vcc
	v_cmp_lt_i32_e32 vcc, v38, v34
	v_lshlrev_b32_e32 v60, 2, v60
	s_waitcnt vmcnt(1)
	ds_write_b128 v40, v[0:3]
	s_waitcnt vmcnt(0)
	ds_write_b128 v41, v[4:7]
	s_waitcnt lgkmcnt(0)
	s_barrier
	ds_read_b128 v[0:3], v42
	ds_read_b128 v[4:7], v32
	ds_read_b128 v[56:59], v42 offset:4608
	s_waitcnt lgkmcnt(1)
	;;#ASMSTART
	v_dot2_f32_f16 v54, v0, v4, v54
	;;#ASMEND
	s_nop 0
	;;#ASMSTART
	v_dot2_f32_f16 v54, v1, v5, v54
	;;#ASMEND
	v_cndmask_b32_e32 v61, v17, v38, vcc
	;;#ASMSTART
	v_dot2_f32_f16 v54, v2, v6, v54
	;;#ASMEND
	v_cmp_lt_i32_e32 vcc, v37, v34
	;;#ASMSTART
	v_dot2_f32_f16 v54, v3, v7, v54
	;;#ASMEND
	s_waitcnt lgkmcnt(0)
	;;#ASMSTART
	v_dot2_f32_f16 v55, v56, v4, v55
	;;#ASMEND
	v_lshlrev_b32_e32 v61, 2, v61
	;;#ASMSTART
	v_dot2_f32_f16 v55, v57, v5, v55
	;;#ASMEND
	s_nop 0
	;;#ASMSTART
	v_dot2_f32_f16 v55, v58, v6, v55
	;;#ASMEND
	s_nop 0
	;;#ASMSTART
	v_dot2_f32_f16 v55, v59, v7, v55
	;;#ASMEND
	ds_read_b128 v[0:3], v42 offset:16
	ds_read_b128 v[4:7], v32 offset:16
	ds_read_b128 v[56:59], v42 offset:4624
	s_waitcnt lgkmcnt(1)
	;;#ASMSTART
	v_dot2_f32_f16 v54, v0, v4, v54
	;;#ASMEND
	s_nop 0
	;;#ASMSTART
	v_dot2_f32_f16 v54, v1, v5, v54
	;;#ASMEND
	s_nop 0
	;;#ASMSTART
	v_dot2_f32_f16 v54, v2, v6, v54
	;;#ASMEND
	s_nop 0
	;;#ASMSTART
	v_dot2_f32_f16 v54, v3, v7, v54
	;;#ASMEND
	s_waitcnt lgkmcnt(0)
	;;#ASMSTART
	v_dot2_f32_f16 v55, v56, v4, v55
	;;#ASMEND
	s_nop 0
	;;#ASMSTART
	v_dot2_f32_f16 v55, v57, v5, v55
	;;#ASMEND
	s_nop 0
	;;#ASMSTART
	v_dot2_f32_f16 v55, v58, v6, v55
	;;#ASMEND
	s_nop 0
	;;#ASMSTART
	v_dot2_f32_f16 v55, v59, v7, v55
	;;#ASMEND
	ds_read_b128 v[0:3], v42 offset:32
	ds_read_b128 v[4:7], v32 offset:32
	ds_read_b128 v[56:59], v42 offset:4640
	s_waitcnt lgkmcnt(1)
	;;#ASMSTART
	v_dot2_f32_f16 v54, v0, v4, v54
	;;#ASMEND
	s_nop 0
	;;#ASMSTART
	v_dot2_f32_f16 v54, v1, v5, v54
	;;#ASMEND
	s_nop 0
	;;#ASMSTART
	v_dot2_f32_f16 v54, v2, v6, v54
	;;#ASMEND
	s_nop 0
	;;#ASMSTART
	v_dot2_f32_f16 v54, v3, v7, v54
	;;#ASMEND
	s_waitcnt lgkmcnt(0)
	;;#ASMSTART
	v_dot2_f32_f16 v55, v56, v4, v55
	;;#ASMEND
	s_nop 0
	;; [unrolled: 35-line block ×7, first 2 shown]
	;;#ASMSTART
	v_dot2_f32_f16 v55, v57, v5, v55
	;;#ASMEND
	s_nop 0
	;;#ASMSTART
	v_dot2_f32_f16 v55, v58, v6, v55
	;;#ASMEND
	s_nop 0
	;;#ASMSTART
	v_dot2_f32_f16 v55, v59, v7, v55
	;;#ASMEND
	s_barrier
	global_load_dwordx4 v[0:3], v[24:25], off offset:128
	global_load_dwordx4 v[4:7], v[26:27], off offset:128
	s_waitcnt vmcnt(1)
	ds_write_b128 v40, v[0:3]
	s_waitcnt vmcnt(0)
	ds_write_b128 v41, v[4:7]
	s_waitcnt lgkmcnt(0)
	s_barrier
	ds_read_b128 v[0:3], v42
	ds_read_b128 v[4:7], v32 offset:128
	ds_read_b128 v[56:59], v42 offset:4608
	s_waitcnt lgkmcnt(1)
	;;#ASMSTART
	v_dot2_f32_f16 v54, v0, v4, v54
	;;#ASMEND
	s_nop 0
	;;#ASMSTART
	v_dot2_f32_f16 v54, v1, v5, v54
	;;#ASMEND
	s_nop 0
	;;#ASMSTART
	v_dot2_f32_f16 v54, v2, v6, v54
	;;#ASMEND
	s_nop 0
	;;#ASMSTART
	v_dot2_f32_f16 v54, v3, v7, v54
	;;#ASMEND
	s_waitcnt lgkmcnt(0)
	;;#ASMSTART
	v_dot2_f32_f16 v55, v56, v4, v55
	;;#ASMEND
	s_nop 0
	;;#ASMSTART
	v_dot2_f32_f16 v55, v57, v5, v55
	;;#ASMEND
	s_nop 0
	;;#ASMSTART
	v_dot2_f32_f16 v55, v58, v6, v55
	;;#ASMEND
	s_nop 0
	;;#ASMSTART
	v_dot2_f32_f16 v55, v59, v7, v55
	;;#ASMEND
	ds_read_b128 v[0:3], v42 offset:16
	ds_read_b128 v[4:7], v32 offset:144
	ds_read_b128 v[56:59], v42 offset:4624
	s_waitcnt lgkmcnt(1)
	;;#ASMSTART
	v_dot2_f32_f16 v54, v0, v4, v54
	;;#ASMEND
	s_nop 0
	;;#ASMSTART
	v_dot2_f32_f16 v54, v1, v5, v54
	;;#ASMEND
	s_nop 0
	;;#ASMSTART
	v_dot2_f32_f16 v54, v2, v6, v54
	;;#ASMEND
	s_nop 0
	;;#ASMSTART
	v_dot2_f32_f16 v54, v3, v7, v54
	;;#ASMEND
	s_waitcnt lgkmcnt(0)
	;;#ASMSTART
	v_dot2_f32_f16 v55, v56, v4, v55
	;;#ASMEND
	s_nop 0
	;;#ASMSTART
	v_dot2_f32_f16 v55, v57, v5, v55
	;;#ASMEND
	s_nop 0
	;;#ASMSTART
	v_dot2_f32_f16 v55, v58, v6, v55
	;;#ASMEND
	s_nop 0
	;;#ASMSTART
	v_dot2_f32_f16 v55, v59, v7, v55
	;;#ASMEND
	ds_read_b128 v[0:3], v42 offset:32
	;; [unrolled: 35-line block ×7, first 2 shown]
	ds_read_b128 v[0:3], v32 offset:240
	ds_read_b128 v[4:7], v42 offset:4720
	s_waitcnt lgkmcnt(1)
	;;#ASMSTART
	v_dot2_f32_f16 v54, v56, v0, v54
	;;#ASMEND
	s_nop 0
	;;#ASMSTART
	v_dot2_f32_f16 v54, v57, v1, v54
	;;#ASMEND
	v_cndmask_b32_e32 v56, v17, v37, vcc
	;;#ASMSTART
	v_dot2_f32_f16 v54, v58, v2, v54
	;;#ASMEND
	v_cmp_lt_i32_e32 vcc, v35, v34
	;;#ASMSTART
	v_dot2_f32_f16 v54, v59, v3, v54
	;;#ASMEND
	s_waitcnt lgkmcnt(0)
	;;#ASMSTART
	v_dot2_f32_f16 v55, v4, v0, v55
	;;#ASMEND
	v_mov_b32_e32 v59, v29
	;;#ASMSTART
	v_dot2_f32_f16 v55, v5, v1, v55
	;;#ASMEND
	v_ashrrev_i32_e32 v29, 31, v28
	;;#ASMSTART
	v_dot2_f32_f16 v55, v6, v2, v55
	;;#ASMEND
	v_lshl_add_u64 v[28:29], v[28:29], 1, s[30:31]
	;;#ASMSTART
	v_dot2_f32_f16 v55, v7, v3, v55
	;;#ASMEND
	s_barrier
	global_load_dwordx4 v[0:3], v[24:25], off offset:256
	global_load_dwordx4 v[4:7], v[26:27], off offset:256
	s_waitcnt vmcnt(1)
	ds_write_b128 v40, v[0:3]
	s_waitcnt vmcnt(0)
	ds_write_b128 v41, v[4:7]
	s_waitcnt lgkmcnt(0)
	s_barrier
	ds_read_b128 v[0:3], v42
	ds_read_b128 v[4:7], v32 offset:256
	ds_read_b128 v[24:27], v42 offset:4608
	s_waitcnt lgkmcnt(1)
	;;#ASMSTART
	v_dot2_f32_f16 v54, v0, v4, v54
	;;#ASMEND
	s_nop 0
	;;#ASMSTART
	v_dot2_f32_f16 v54, v1, v5, v54
	;;#ASMEND
	v_cndmask_b32_e32 v57, v17, v35, vcc
	;;#ASMSTART
	v_dot2_f32_f16 v54, v2, v6, v54
	;;#ASMEND
	v_lshlrev_b32_e32 v64, 2, v56
	;;#ASMSTART
	v_dot2_f32_f16 v54, v3, v7, v54
	;;#ASMEND
	s_waitcnt lgkmcnt(0)
	;;#ASMSTART
	v_dot2_f32_f16 v55, v24, v4, v55
	;;#ASMEND
	v_lshlrev_b32_e32 v65, 2, v57
	;;#ASMSTART
	v_dot2_f32_f16 v55, v25, v5, v55
	;;#ASMEND
	v_cmp_lt_i32_e32 vcc, v36, v34
	;;#ASMSTART
	v_dot2_f32_f16 v55, v26, v6, v55
	;;#ASMEND
	s_nop 0
	;;#ASMSTART
	v_dot2_f32_f16 v55, v27, v7, v55
	;;#ASMEND
	ds_read_b128 v[0:3], v42 offset:16
	ds_read_b128 v[4:7], v32 offset:272
	;; [unrolled: 1-line block ×3, first 2 shown]
	s_waitcnt lgkmcnt(1)
	;;#ASMSTART
	v_dot2_f32_f16 v54, v0, v4, v54
	;;#ASMEND
	s_nop 0
	;;#ASMSTART
	v_dot2_f32_f16 v54, v1, v5, v54
	;;#ASMEND
	v_cndmask_b32_e32 v58, v17, v36, vcc
	;;#ASMSTART
	v_dot2_f32_f16 v54, v2, v6, v54
	;;#ASMEND
	v_lshlrev_b32_e32 v58, 2, v58
	;;#ASMSTART
	v_dot2_f32_f16 v54, v3, v7, v54
	;;#ASMEND
	s_waitcnt lgkmcnt(0)
	;;#ASMSTART
	v_dot2_f32_f16 v55, v24, v4, v55
	;;#ASMEND
	s_nop 0
	;;#ASMSTART
	v_dot2_f32_f16 v55, v25, v5, v55
	;;#ASMEND
	s_nop 0
	;;#ASMSTART
	v_dot2_f32_f16 v55, v26, v6, v55
	;;#ASMEND
	s_nop 0
	;;#ASMSTART
	v_dot2_f32_f16 v55, v27, v7, v55
	;;#ASMEND
	ds_read_b128 v[0:3], v42 offset:32
	ds_read_b128 v[4:7], v32 offset:288
	ds_read_b128 v[24:27], v42 offset:4640
	s_waitcnt lgkmcnt(1)
	;;#ASMSTART
	v_dot2_f32_f16 v54, v0, v4, v54
	;;#ASMEND
	s_nop 0
	;;#ASMSTART
	v_dot2_f32_f16 v54, v1, v5, v54
	;;#ASMEND
	s_nop 0
	;;#ASMSTART
	v_dot2_f32_f16 v54, v2, v6, v54
	;;#ASMEND
	s_nop 0
	;;#ASMSTART
	v_dot2_f32_f16 v54, v3, v7, v54
	;;#ASMEND
	s_waitcnt lgkmcnt(0)
	;;#ASMSTART
	v_dot2_f32_f16 v55, v24, v4, v55
	;;#ASMEND
	s_nop 0
	;;#ASMSTART
	v_dot2_f32_f16 v55, v25, v5, v55
	;;#ASMEND
	s_nop 0
	;;#ASMSTART
	v_dot2_f32_f16 v55, v26, v6, v55
	;;#ASMEND
	s_nop 0
	;;#ASMSTART
	v_dot2_f32_f16 v55, v27, v7, v55
	;;#ASMEND
	ds_read_b128 v[0:3], v42 offset:48
	ds_read_b128 v[4:7], v32 offset:304
	ds_read_b128 v[24:27], v42 offset:4656
	s_waitcnt lgkmcnt(1)
	;;#ASMSTART
	v_dot2_f32_f16 v54, v0, v4, v54
	;;#ASMEND
	s_nop 0
	;;#ASMSTART
	v_dot2_f32_f16 v54, v1, v5, v54
	;;#ASMEND
	s_nop 0
	;;#ASMSTART
	v_dot2_f32_f16 v54, v2, v6, v54
	;;#ASMEND
	s_nop 0
	;; [unrolled: 35-line block ×5, first 2 shown]
	;;#ASMSTART
	v_dot2_f32_f16 v54, v3, v7, v54
	;;#ASMEND
	s_waitcnt lgkmcnt(0)
	;;#ASMSTART
	v_dot2_f32_f16 v55, v24, v4, v55
	;;#ASMEND
	s_nop 0
	;;#ASMSTART
	v_dot2_f32_f16 v55, v25, v5, v55
	;;#ASMEND
	s_nop 0
	;;#ASMSTART
	v_dot2_f32_f16 v55, v26, v6, v55
	;;#ASMEND
	s_nop 0
	;;#ASMSTART
	v_dot2_f32_f16 v55, v27, v7, v55
	;;#ASMEND
	ds_read_b128 v[0:3], v42 offset:112
	ds_read_b128 v[4:7], v32 offset:368
	ds_read_b128 v[24:27], v42 offset:4720
	s_waitcnt lgkmcnt(1)
	;;#ASMSTART
	v_dot2_f32_f16 v54, v0, v4, v54
	;;#ASMEND
	s_nop 0
	;;#ASMSTART
	v_dot2_f32_f16 v54, v1, v5, v54
	;;#ASMEND
	v_lshl_add_u64 v[0:1], s[4:5], 0, v[18:19]
	;;#ASMSTART
	v_dot2_f32_f16 v54, v2, v6, v54
	;;#ASMEND
	v_lshl_add_u64 v[0:1], v[0:1], 0, v[20:21]
	;;#ASMSTART
	v_dot2_f32_f16 v54, v3, v7, v54
	;;#ASMEND
	s_waitcnt lgkmcnt(0)
	;;#ASMSTART
	v_dot2_f32_f16 v55, v24, v4, v55
	;;#ASMEND
	v_lshl_add_u64 v[2:3], s[4:5], 0, v[22:23]
	;;#ASMSTART
	v_dot2_f32_f16 v55, v25, v5, v55
	;;#ASMEND
	s_mul_hi_i32 s5, s6, s10
	;;#ASMSTART
	v_dot2_f32_f16 v55, v26, v6, v55
	;;#ASMEND
	s_mul_i32 s4, s6, s10
	;;#ASMSTART
	v_dot2_f32_f16 v55, v27, v7, v55
	;;#ASMEND
	global_load_ushort v24, v[28:29], off
	global_load_ushort v25, v[28:29], off offset:64
	s_lshl_b64 s[4:5], s[4:5], 2
	s_add_u32 s4, s20, s4
	s_addc_u32 s5, s21, s5
	v_lshl_add_u64 v[56:57], v[2:3], 0, v[20:21]
	v_lshl_add_u64 v[2:3], s[4:5], 0, v[18:19]
	;; [unrolled: 1-line block ×5, first 2 shown]
	s_barrier
	global_load_dwordx4 v[2:5], v[0:1], off
	s_waitcnt vmcnt(2)
	v_cvt_f32_f16_e32 v0, v24
	s_waitcnt vmcnt(1)
	v_cvt_f32_f16_e32 v1, v25
	v_add_f32_e32 v24, v54, v0
	v_add_f32_e32 v1, v55, v1
	;; [unrolled: 1-line block ×4, first 2 shown]
	v_max3_f32 v0, v53, v0, v25
	ds_bpermute_b32 v25, v60, v0
	s_waitcnt lgkmcnt(0)
	v_max_f32_e32 v25, v25, v25
	v_max_f32_e32 v0, v0, v25
	ds_bpermute_b32 v25, v61, v0
	s_waitcnt lgkmcnt(0)
	v_max_f32_e32 v25, v25, v25
	v_max_f32_e32 v0, v0, v25
	;; [unrolled: 4-line block ×5, first 2 shown]
	v_sub_f32_e32 v29, v24, v0
	v_sub_f32_e32 v28, v53, v0
	;; [unrolled: 1-line block ×3, first 2 shown]
	v_mul_f32_e32 v24, 0x3fb8aa3b, v29
	v_mul_f32_e32 v25, 0x3fb8aa3b, v1
	;; [unrolled: 1-line block ×3, first 2 shown]
	v_fma_f32 v27, v29, s24, -v24
	v_rndne_f32_e32 v53, v24
	v_fma_f32 v54, v1, s24, -v25
	v_rndne_f32_e32 v55, v25
	v_fma_f32 v58, v28, s24, -v26
	v_fmac_f32_e32 v27, 0x32a5705f, v29
	v_sub_f32_e32 v24, v24, v53
	v_rndne_f32_e32 v61, v26
	v_add_f32_e32 v60, v24, v27
	v_fmac_f32_e32 v54, 0x32a5705f, v1
	v_sub_f32_e32 v24, v25, v55
	v_fmac_f32_e32 v58, 0x32a5705f, v28
	v_sub_f32_e32 v25, v26, v61
	v_add_f32_e32 v54, v24, v54
	v_add_f32_e32 v58, v25, v58
	global_load_dwordx4 v[24:27], v[56:57], off
	v_cvt_i32_f32_e32 v53, v53
	v_exp_f32_e32 v57, v60
	v_cvt_i32_f32_e32 v55, v55
	v_cvt_i32_f32_e32 v56, v61
	v_exp_f32_e32 v54, v54
	v_exp_f32_e32 v58, v58
	v_ldexp_f32 v53, v57, v53
	v_cmp_ngt_f32_e64 s[6:7], s25, v29
	v_ldexp_f32 v54, v54, v55
	v_cmp_ngt_f32_e32 vcc, s25, v1
	v_ldexp_f32 v55, v58, v56
	v_cmp_ngt_f32_e64 s[4:5], s25, v28
	v_cndmask_b32_e64 v53, 0, v53, s[6:7]
	v_cmp_nlt_f32_e64 s[6:7], s26, v29
	v_cndmask_b32_e32 v54, 0, v54, vcc
	v_cmp_nlt_f32_e32 vcc, s26, v1
	v_cndmask_b32_e64 v1, 0, v55, s[4:5]
	v_cmp_nlt_f32_e64 s[4:5], s26, v28
	v_cndmask_b32_e64 v28, v47, v53, s[6:7]
	v_cndmask_b32_e32 v29, v47, v54, vcc
	v_cvt_f16_f32_e32 v53, v28
	v_cvt_f16_f32_e32 v54, v29
	v_cndmask_b32_e64 v1, v47, v1, s[4:5]
	ds_write_b16 v44, v53
	ds_write_b16 v44, v54 offset:64
	s_waitcnt vmcnt(1)
	ds_write_b128 v45, v[2:5]
	s_waitcnt vmcnt(0)
	ds_write_b128 v46, v[24:27]
	s_waitcnt lgkmcnt(0)
	s_barrier
	ds_read_b128 v[2:5], v43
	ds_read2_b64 v[24:27], v33 offset1:32
	v_add_f32_e32 v28, v28, v29
	v_cvt_f16_f32_e32 v55, v1
	v_mov_b32_e32 v29, v28
	v_fmac_f32_e32 v29, v59, v1
	ds_read2_b64 v[58:61], v33 offset0:64 offset1:96
	s_waitcnt lgkmcnt(2)
	v_mul_u32_u24_sdwa v28, v2, s27 dst_sel:DWORD dst_unused:UNUSED_PAD src0_sel:WORD_0 src1_sel:DWORD
	v_mul_u32_u24_e32 v1, 0x10001, v55
	s_waitcnt lgkmcnt(1)
	v_pk_mul_f16 v24, v24, v28
	v_pk_mul_f16 v25, v25, v28
	v_pk_fma_f16 v24, v52, v1, v24
	v_pk_fma_f16 v1, v51, v1, v25
	v_mul_u32_u24_sdwa v2, v2, s27 dst_sel:DWORD dst_unused:UNUSED_PAD src0_sel:WORD_1 src1_sel:DWORD
	v_pk_fma_f16 v28, v26, v2, v24
	v_pk_fma_f16 v1, v27, v2, v1
	ds_read2_b64 v[24:27], v33 offset0:128 offset1:160
	v_mul_u32_u24_sdwa v2, v3, s27 dst_sel:DWORD dst_unused:UNUSED_PAD src0_sel:WORD_0 src1_sel:DWORD
	s_waitcnt lgkmcnt(1)
	v_pk_fma_f16 v28, v58, v2, v28
	v_pk_fma_f16 v1, v59, v2, v1
	v_mul_u32_u24_sdwa v2, v3, s27 dst_sel:DWORD dst_unused:UNUSED_PAD src0_sel:WORD_1 src1_sel:DWORD
	v_pk_fma_f16 v3, v60, v2, v28
	v_pk_fma_f16 v1, v61, v2, v1
	ds_read2_b64 v[58:61], v33 offset0:192 offset1:224
	v_mul_u32_u24_sdwa v2, v4, s27 dst_sel:DWORD dst_unused:UNUSED_PAD src0_sel:WORD_0 src1_sel:DWORD
	s_waitcnt lgkmcnt(1)
	v_pk_fma_f16 v3, v24, v2, v3
	v_pk_fma_f16 v1, v25, v2, v1
	v_mul_u32_u24_sdwa v2, v4, s27 dst_sel:DWORD dst_unused:UNUSED_PAD src0_sel:WORD_1 src1_sel:DWORD
	ds_read_b128 v[54:57], v43 offset:16
	v_pk_fma_f16 v3, v26, v2, v3
	v_pk_fma_f16 v1, v27, v2, v1
	v_mul_u32_u24_sdwa v2, v5, s27 dst_sel:DWORD dst_unused:UNUSED_PAD src0_sel:WORD_0 src1_sel:DWORD
	v_mul_u32_u24_sdwa v28, v5, s27 dst_sel:DWORD dst_unused:UNUSED_PAD src0_sel:WORD_1 src1_sel:DWORD
	s_waitcnt lgkmcnt(1)
	v_pk_fma_f16 v51, v58, v2, v3
	v_pk_fma_f16 v1, v59, v2, v1
	ds_read2_b64 v[2:5], v48 offset1:32
	v_pk_fma_f16 v51, v60, v28, v51
	v_pk_fma_f16 v1, v61, v28, v1
	ds_read2_b64 v[58:61], v48 offset0:64 offset1:96
	ds_read_b128 v[24:27], v43 offset:32
	s_waitcnt lgkmcnt(3)
	v_mul_u32_u24_sdwa v28, v54, s27 dst_sel:DWORD dst_unused:UNUSED_PAD src0_sel:WORD_0 src1_sel:DWORD
	s_waitcnt lgkmcnt(2)
	v_pk_fma_f16 v2, v2, v28, v51
	v_pk_fma_f16 v1, v3, v28, v1
	v_mul_u32_u24_sdwa v3, v54, s27 dst_sel:DWORD dst_unused:UNUSED_PAD src0_sel:WORD_1 src1_sel:DWORD
	v_pk_fma_f16 v28, v4, v3, v2
	v_pk_fma_f16 v1, v5, v3, v1
	ds_read2_b64 v[2:5], v48 offset0:128 offset1:160
	v_mul_u32_u24_sdwa v51, v55, s27 dst_sel:DWORD dst_unused:UNUSED_PAD src0_sel:WORD_0 src1_sel:DWORD
	s_waitcnt lgkmcnt(2)
	v_pk_fma_f16 v28, v58, v51, v28
	v_pk_fma_f16 v1, v59, v51, v1
	v_mul_u32_u24_sdwa v51, v55, s27 dst_sel:DWORD dst_unused:UNUSED_PAD src0_sel:WORD_1 src1_sel:DWORD
	ds_read2_b64 v[52:55], v48 offset0:192 offset1:224
	v_pk_fma_f16 v28, v60, v51, v28
	v_pk_fma_f16 v1, v61, v51, v1
	v_mul_u32_u24_sdwa v51, v56, s27 dst_sel:DWORD dst_unused:UNUSED_PAD src0_sel:WORD_0 src1_sel:DWORD
	s_waitcnt lgkmcnt(1)
	v_pk_fma_f16 v2, v2, v51, v28
	v_pk_fma_f16 v1, v3, v51, v1
	v_mul_u32_u24_sdwa v3, v56, s27 dst_sel:DWORD dst_unused:UNUSED_PAD src0_sel:WORD_1 src1_sel:DWORD
	v_mul_u32_u24_sdwa v51, v57, s27 dst_sel:DWORD dst_unused:UNUSED_PAD src0_sel:WORD_0 src1_sel:DWORD
	v_mul_u32_u24_sdwa v60, v57, s27 dst_sel:DWORD dst_unused:UNUSED_PAD src0_sel:WORD_1 src1_sel:DWORD
	ds_read2_b64 v[56:59], v49 offset1:32
	v_pk_fma_f16 v28, v4, v3, v2
	v_pk_fma_f16 v1, v5, v3, v1
	s_waitcnt lgkmcnt(1)
	v_pk_fma_f16 v28, v52, v51, v28
	v_pk_fma_f16 v1, v53, v51, v1
	;; [unrolled: 1-line block ×4, first 2 shown]
	ds_read2_b64 v[52:55], v49 offset0:64 offset1:96
	v_mul_u32_u24_sdwa v51, v24, s27 dst_sel:DWORD dst_unused:UNUSED_PAD src0_sel:WORD_0 src1_sel:DWORD
	s_waitcnt lgkmcnt(1)
	v_pk_fma_f16 v28, v56, v51, v28
	v_pk_fma_f16 v1, v57, v51, v1
	v_mul_u32_u24_sdwa v24, v24, s27 dst_sel:DWORD dst_unused:UNUSED_PAD src0_sel:WORD_1 src1_sel:DWORD
	v_pk_fma_f16 v28, v58, v24, v28
	v_pk_fma_f16 v1, v59, v24, v1
	ds_read2_b64 v[56:59], v49 offset0:128 offset1:160
	v_mul_u32_u24_sdwa v24, v25, s27 dst_sel:DWORD dst_unused:UNUSED_PAD src0_sel:WORD_0 src1_sel:DWORD
	s_waitcnt lgkmcnt(1)
	v_pk_fma_f16 v28, v52, v24, v28
	v_pk_fma_f16 v1, v53, v24, v1
	v_mul_u32_u24_sdwa v24, v25, s27 dst_sel:DWORD dst_unused:UNUSED_PAD src0_sel:WORD_1 src1_sel:DWORD
	v_pk_fma_f16 v25, v54, v24, v28
	v_pk_fma_f16 v1, v55, v24, v1
	ds_read2_b64 v[52:55], v49 offset0:192 offset1:224
	v_mul_u32_u24_sdwa v24, v26, s27 dst_sel:DWORD dst_unused:UNUSED_PAD src0_sel:WORD_0 src1_sel:DWORD
	ds_read_b128 v[2:5], v43 offset:48
	s_waitcnt lgkmcnt(2)
	v_pk_fma_f16 v25, v56, v24, v25
	v_pk_fma_f16 v1, v57, v24, v1
	v_mul_u32_u24_sdwa v24, v26, s27 dst_sel:DWORD dst_unused:UNUSED_PAD src0_sel:WORD_1 src1_sel:DWORD
	v_pk_fma_f16 v25, v58, v24, v25
	v_pk_fma_f16 v1, v59, v24, v1
	ds_read2_b64 v[56:59], v50 offset1:32
	v_mul_u32_u24_sdwa v24, v27, s27 dst_sel:DWORD dst_unused:UNUSED_PAD src0_sel:WORD_0 src1_sel:DWORD
	v_mul_u32_u24_sdwa v28, v27, s27 dst_sel:DWORD dst_unused:UNUSED_PAD src0_sel:WORD_1 src1_sel:DWORD
	s_waitcnt lgkmcnt(2)
	v_pk_fma_f16 v51, v52, v24, v25
	v_pk_fma_f16 v1, v53, v24, v1
	ds_read2_b64 v[24:27], v50 offset0:64 offset1:96
	v_pk_fma_f16 v51, v54, v28, v51
	v_pk_fma_f16 v1, v55, v28, v1
	s_waitcnt lgkmcnt(2)
	v_mul_u32_u24_sdwa v28, v2, s27 dst_sel:DWORD dst_unused:UNUSED_PAD src0_sel:WORD_0 src1_sel:DWORD
	s_waitcnt lgkmcnt(1)
	v_pk_fma_f16 v51, v56, v28, v51
	v_pk_fma_f16 v1, v57, v28, v1
	v_mul_u32_u24_sdwa v2, v2, s27 dst_sel:DWORD dst_unused:UNUSED_PAD src0_sel:WORD_1 src1_sel:DWORD
	v_pk_fma_f16 v28, v58, v2, v51
	v_pk_fma_f16 v1, v59, v2, v1
	v_mul_u32_u24_sdwa v2, v3, s27 dst_sel:DWORD dst_unused:UNUSED_PAD src0_sel:WORD_0 src1_sel:DWORD
	s_waitcnt lgkmcnt(0)
	v_pk_fma_f16 v24, v24, v2, v28
	v_pk_fma_f16 v1, v25, v2, v1
	v_mul_u32_u24_sdwa v2, v3, s27 dst_sel:DWORD dst_unused:UNUSED_PAD src0_sel:WORD_1 src1_sel:DWORD
	ds_read2_b64 v[52:55], v50 offset0:128 offset1:160
	ds_read2_b64 v[56:59], v50 offset0:192 offset1:224
	s_waitcnt lgkmcnt(0)
	s_barrier
	v_pk_fma_f16 v28, v26, v2, v24
	v_pk_fma_f16 v1, v27, v2, v1
	global_load_dwordx4 v[24:27], v[6:7], off
	v_mul_u32_u24_sdwa v6, v4, s27 dst_sel:DWORD dst_unused:UNUSED_PAD src0_sel:WORD_0 src1_sel:DWORD
	v_mul_u32_u24_sdwa v7, v4, s27 dst_sel:DWORD dst_unused:UNUSED_PAD src0_sel:WORD_1 src1_sel:DWORD
	v_mul_u32_u24_sdwa v51, v5, s27 dst_sel:DWORD dst_unused:UNUSED_PAD src0_sel:WORD_0 src1_sel:DWORD
	v_mul_u32_u24_sdwa v60, v5, s27 dst_sel:DWORD dst_unused:UNUSED_PAD src0_sel:WORD_1 src1_sel:DWORD
	global_load_dwordx4 v[2:5], v[62:63], off
	v_pk_fma_f16 v28, v52, v6, v28
	v_pk_fma_f16 v1, v53, v6, v1
	;; [unrolled: 1-line block ×8, first 2 shown]
	s_waitcnt vmcnt(1)
	ds_write_b128 v45, v[24:27]
	s_waitcnt vmcnt(0)
	ds_write_b128 v46, v[2:5]
	s_waitcnt lgkmcnt(0)
	s_barrier
	ds_read_b128 v[2:5], v43 offset:64
	ds_read2_b64 v[24:27], v33 offset1:32
	ds_read_b128 v[52:55], v43 offset:80
	ds_read_b128 v[56:59], v43 offset:96
	ds_read2_b64 v[60:63], v33 offset0:64 offset1:96
	s_waitcnt lgkmcnt(4)
	v_mul_u32_u24_sdwa v7, v2, s27 dst_sel:DWORD dst_unused:UNUSED_PAD src0_sel:WORD_0 src1_sel:DWORD
	s_waitcnt lgkmcnt(3)
	v_pk_fma_f16 v6, v24, v7, v6
	v_pk_fma_f16 v1, v25, v7, v1
	v_mul_u32_u24_sdwa v2, v2, s27 dst_sel:DWORD dst_unused:UNUSED_PAD src0_sel:WORD_1 src1_sel:DWORD
	v_pk_fma_f16 v6, v26, v2, v6
	v_pk_fma_f16 v1, v27, v2, v1
	ds_read2_b64 v[24:27], v33 offset0:128 offset1:160
	v_mul_u32_u24_sdwa v2, v3, s27 dst_sel:DWORD dst_unused:UNUSED_PAD src0_sel:WORD_0 src1_sel:DWORD
	s_waitcnt lgkmcnt(1)
	v_pk_fma_f16 v6, v60, v2, v6
	v_pk_fma_f16 v1, v61, v2, v1
	v_mul_u32_u24_sdwa v2, v3, s27 dst_sel:DWORD dst_unused:UNUSED_PAD src0_sel:WORD_1 src1_sel:DWORD
	v_pk_fma_f16 v3, v62, v2, v6
	v_pk_fma_f16 v1, v63, v2, v1
	ds_read2_b64 v[60:63], v33 offset0:192 offset1:224
	v_mul_u32_u24_sdwa v2, v4, s27 dst_sel:DWORD dst_unused:UNUSED_PAD src0_sel:WORD_0 src1_sel:DWORD
	s_waitcnt lgkmcnt(1)
	v_pk_fma_f16 v3, v24, v2, v3
	v_pk_fma_f16 v1, v25, v2, v1
	v_mul_u32_u24_sdwa v2, v4, s27 dst_sel:DWORD dst_unused:UNUSED_PAD src0_sel:WORD_1 src1_sel:DWORD
	v_pk_fma_f16 v3, v26, v2, v3
	v_pk_fma_f16 v1, v27, v2, v1
	v_mul_u32_u24_sdwa v2, v5, s27 dst_sel:DWORD dst_unused:UNUSED_PAD src0_sel:WORD_0 src1_sel:DWORD
	v_mul_u32_u24_sdwa v6, v5, s27 dst_sel:DWORD dst_unused:UNUSED_PAD src0_sel:WORD_1 src1_sel:DWORD
	s_waitcnt lgkmcnt(0)
	v_pk_fma_f16 v7, v60, v2, v3
	v_pk_fma_f16 v1, v61, v2, v1
	ds_read2_b64 v[2:5], v48 offset1:32
	v_pk_fma_f16 v7, v62, v6, v7
	v_pk_fma_f16 v1, v63, v6, v1
	ds_read2_b64 v[60:63], v48 offset0:64 offset1:96
	v_mul_u32_u24_sdwa v6, v52, s27 dst_sel:DWORD dst_unused:UNUSED_PAD src0_sel:WORD_0 src1_sel:DWORD
	s_waitcnt lgkmcnt(1)
	v_pk_fma_f16 v2, v2, v6, v7
	v_pk_fma_f16 v1, v3, v6, v1
	v_mul_u32_u24_sdwa v3, v52, s27 dst_sel:DWORD dst_unused:UNUSED_PAD src0_sel:WORD_1 src1_sel:DWORD
	v_pk_fma_f16 v6, v4, v3, v2
	v_pk_fma_f16 v1, v5, v3, v1
	ds_read2_b64 v[2:5], v48 offset0:128 offset1:160
	v_mul_u32_u24_sdwa v7, v53, s27 dst_sel:DWORD dst_unused:UNUSED_PAD src0_sel:WORD_0 src1_sel:DWORD
	s_waitcnt lgkmcnt(1)
	v_pk_fma_f16 v6, v60, v7, v6
	v_pk_fma_f16 v1, v61, v7, v1
	v_mul_u32_u24_sdwa v7, v53, s27 dst_sel:DWORD dst_unused:UNUSED_PAD src0_sel:WORD_1 src1_sel:DWORD
	;; [unrolled: 8-line block ×3, first 2 shown]
	v_pk_fma_f16 v6, v4, v3, v2
	v_pk_fma_f16 v1, v5, v3, v1
	ds_read2_b64 v[2:5], v49 offset1:32
	v_mul_u32_u24_sdwa v7, v55, s27 dst_sel:DWORD dst_unused:UNUSED_PAD src0_sel:WORD_0 src1_sel:DWORD
	v_mul_u32_u24_sdwa v28, v55, s27 dst_sel:DWORD dst_unused:UNUSED_PAD src0_sel:WORD_1 src1_sel:DWORD
	ds_read2_b64 v[52:55], v49 offset0:64 offset1:96
	s_waitcnt lgkmcnt(2)
	v_pk_fma_f16 v6, v60, v7, v6
	v_pk_fma_f16 v1, v61, v7, v1
	;; [unrolled: 1-line block ×4, first 2 shown]
	ds_read2_b64 v[60:63], v49 offset0:128 offset1:160
	v_mul_u32_u24_sdwa v7, v56, s27 dst_sel:DWORD dst_unused:UNUSED_PAD src0_sel:WORD_0 src1_sel:DWORD
	s_waitcnt lgkmcnt(2)
	v_pk_fma_f16 v2, v2, v7, v6
	v_pk_fma_f16 v1, v3, v7, v1
	v_mul_u32_u24_sdwa v3, v56, s27 dst_sel:DWORD dst_unused:UNUSED_PAD src0_sel:WORD_1 src1_sel:DWORD
	v_pk_fma_f16 v6, v4, v3, v2
	v_pk_fma_f16 v1, v5, v3, v1
	ds_read2_b64 v[2:5], v49 offset0:192 offset1:224
	v_mul_u32_u24_sdwa v7, v57, s27 dst_sel:DWORD dst_unused:UNUSED_PAD src0_sel:WORD_0 src1_sel:DWORD
	ds_read_b128 v[24:27], v43 offset:112
	s_waitcnt lgkmcnt(3)
	v_pk_fma_f16 v6, v52, v7, v6
	v_pk_fma_f16 v1, v53, v7, v1
	v_mul_u32_u24_sdwa v7, v57, s27 dst_sel:DWORD dst_unused:UNUSED_PAD src0_sel:WORD_1 src1_sel:DWORD
	v_pk_fma_f16 v6, v54, v7, v6
	v_pk_fma_f16 v1, v55, v7, v1
	ds_read2_b64 v[52:55], v50 offset1:32
	v_mul_u32_u24_sdwa v7, v58, s27 dst_sel:DWORD dst_unused:UNUSED_PAD src0_sel:WORD_0 src1_sel:DWORD
	s_waitcnt lgkmcnt(3)
	v_pk_fma_f16 v6, v60, v7, v6
	v_pk_fma_f16 v1, v61, v7, v1
	v_mul_u32_u24_sdwa v7, v58, s27 dst_sel:DWORD dst_unused:UNUSED_PAD src0_sel:WORD_1 src1_sel:DWORD
	v_pk_fma_f16 v6, v62, v7, v6
	v_pk_fma_f16 v1, v63, v7, v1
	ds_read2_b64 v[60:63], v50 offset0:64 offset1:96
	v_mul_u32_u24_sdwa v7, v59, s27 dst_sel:DWORD dst_unused:UNUSED_PAD src0_sel:WORD_0 src1_sel:DWORD
	v_mul_u32_u24_sdwa v28, v59, s27 dst_sel:DWORD dst_unused:UNUSED_PAD src0_sel:WORD_1 src1_sel:DWORD
	s_waitcnt lgkmcnt(3)
	v_pk_fma_f16 v2, v2, v7, v6
	v_pk_fma_f16 v1, v3, v7, v1
	ds_read2_b64 v[56:59], v50 offset0:128 offset1:160
	v_pk_fma_f16 v6, v4, v28, v2
	v_pk_fma_f16 v1, v5, v28, v1
	s_waitcnt lgkmcnt(3)
	v_mul_u32_u24_sdwa v7, v24, s27 dst_sel:DWORD dst_unused:UNUSED_PAD src0_sel:WORD_0 src1_sel:DWORD
	ds_read2_b64 v[2:5], v50 offset0:192 offset1:224
	s_waitcnt lgkmcnt(0)
	s_barrier
	s_load_dword s4, s[8:9], 0x4
	v_pk_fma_f16 v6, v52, v7, v6
	v_pk_fma_f16 v1, v53, v7, v1
	v_mul_u32_u24_sdwa v7, v24, s27 dst_sel:DWORD dst_unused:UNUSED_PAD src0_sel:WORD_1 src1_sel:DWORD
	v_pk_fma_f16 v6, v54, v7, v6
	v_pk_fma_f16 v1, v55, v7, v1
	v_mul_u32_u24_sdwa v7, v25, s27 dst_sel:DWORD dst_unused:UNUSED_PAD src0_sel:WORD_0 src1_sel:DWORD
	v_mul_u32_u24_sdwa v24, v25, s27 dst_sel:DWORD dst_unused:UNUSED_PAD src0_sel:WORD_1 src1_sel:DWORD
	v_pk_fma_f16 v6, v60, v7, v6
	v_pk_fma_f16 v1, v61, v7, v1
	v_mul_u32_u24_sdwa v25, v26, s27 dst_sel:DWORD dst_unused:UNUSED_PAD src0_sel:WORD_0 src1_sel:DWORD
	v_pk_fma_f16 v6, v62, v24, v6
	v_pk_fma_f16 v1, v63, v24, v1
	v_mul_u32_u24_sdwa v26, v26, s27 dst_sel:DWORD dst_unused:UNUSED_PAD src0_sel:WORD_1 src1_sel:DWORD
	v_pk_fma_f16 v6, v56, v25, v6
	v_pk_fma_f16 v1, v57, v25, v1
	v_mul_u32_u24_sdwa v28, v27, s27 dst_sel:DWORD dst_unused:UNUSED_PAD src0_sel:WORD_0 src1_sel:DWORD
	s_waitcnt lgkmcnt(0)
	s_lshl_b32 s4, s4, 6
	v_pk_fma_f16 v6, v58, v26, v6
	v_pk_fma_f16 v1, v59, v26, v1
	v_mul_u32_u24_sdwa v27, v27, s27 dst_sel:DWORD dst_unused:UNUSED_PAD src0_sel:WORD_1 src1_sel:DWORD
	s_add_i32 s2, s4, s2
	v_pk_fma_f16 v2, v2, v28, v6
	v_pk_fma_f16 v1, v3, v28, v1
	s_cmp_ge_i32 s2, s28
	v_pk_fma_f16 v52, v4, v27, v2
	v_pk_fma_f16 v51, v5, v27, v1
	s_cbranch_scc0 .LBB16_11
.LBB16_12:
	v_cmp_lt_i32_e32 vcc, v39, v34
	s_cmp_lg_u64 s[12:13], 0
	s_cselect_b64 s[4:5], -1, 0
	v_cndmask_b32_e32 v1, v17, v39, vcc
	v_lshlrev_b32_e32 v1, 2, v1
	ds_bpermute_b32 v1, v1, v29
	v_cmp_lt_i32_e32 vcc, v38, v34
	s_cmp_eq_u32 s3, 0
	s_cselect_b64 s[6:7], -1, 0
	v_cndmask_b32_e32 v2, v17, v38, vcc
	v_lshlrev_b32_e32 v2, 2, v2
	s_waitcnt lgkmcnt(0)
	v_add_f32_e32 v1, v29, v1
	ds_bpermute_b32 v2, v2, v1
	v_cmp_lt_i32_e32 vcc, v37, v34
	s_and_b64 s[4:5], s[6:7], s[4:5]
	s_waitcnt lgkmcnt(0)
	v_add_f32_e32 v1, v1, v2
	v_cndmask_b32_e32 v3, v17, v37, vcc
	v_lshlrev_b32_e32 v3, 2, v3
	ds_bpermute_b32 v2, v3, v1
	v_cmp_lt_i32_e32 vcc, v35, v34
	s_waitcnt lgkmcnt(0)
	v_add_f32_e32 v1, v1, v2
	v_cndmask_b32_e32 v3, v17, v35, vcc
	v_lshlrev_b32_e32 v3, 2, v3
	ds_bpermute_b32 v3, v3, v1
	v_cmp_lt_i32_e32 vcc, v36, v34
	v_add_u32_e32 v2, s29, v30
	s_waitcnt lgkmcnt(0)
	v_add_f32_e32 v1, v1, v3
	v_cndmask_b32_e32 v4, v17, v36, vcc
	v_lshlrev_b32_e32 v4, 2, v4
	ds_bpermute_b32 v3, v4, v1
	s_and_b64 vcc, exec, s[4:5]
	s_waitcnt lgkmcnt(0)
	v_add_f32_e32 v1, v1, v3
	s_cbranch_vccz .LBB16_14
; %bb.13:
	v_ashrrev_i32_e32 v3, 31, v2
	v_lshl_add_u64 v[4:5], v[2:3], 2, s[12:13]
	global_load_dword v3, v[4:5], off
	v_max_f32_e32 v4, v0, v0
	s_mov_b32 s2, 0x3fb8aa3b
	s_mov_b32 s4, 0xc2ce8ed0
	s_waitcnt vmcnt(0)
	v_max_f32_e32 v5, v3, v3
	v_max_f32_e32 v4, v4, v5
	v_sub_f32_e32 v0, v0, v4
	v_sub_f32_e32 v3, v3, v4
	v_mul_f32_e32 v5, 0x3fb8aa3b, v0
	v_mul_f32_e32 v6, 0x3fb8aa3b, v3
	v_fma_f32 v7, v0, s2, -v5
	v_rndne_f32_e32 v10, v5
	v_fma_f32 v11, v3, s2, -v6
	v_rndne_f32_e32 v12, v6
	v_fmac_f32_e32 v7, 0x32a5705f, v0
	v_sub_f32_e32 v5, v5, v10
	v_fmac_f32_e32 v11, 0x32a5705f, v3
	v_sub_f32_e32 v6, v6, v12
	v_add_f32_e32 v5, v5, v7
	v_cvt_i32_f32_e32 v10, v10
	v_add_f32_e32 v6, v6, v11
	v_exp_f32_e32 v5, v5
	v_cvt_i32_f32_e32 v12, v12
	v_exp_f32_e32 v6, v6
	v_cmp_ngt_f32_e32 vcc, s4, v0
	v_ldexp_f32 v5, v5, v10
	s_mov_b32 s2, 0x42b17218
	v_ldexp_f32 v6, v6, v12
	v_cndmask_b32_e32 v5, 0, v5, vcc
	v_cmp_ngt_f32_e32 vcc, s4, v3
	v_mov_b32_e32 v7, 0x7f800000
	s_nop 0
	v_cndmask_b32_e32 v6, 0, v6, vcc
	v_cmp_nlt_f32_e32 vcc, s2, v0
	s_nop 1
	v_cndmask_b32_e32 v0, v7, v5, vcc
	v_cvt_f16_f32_e32 v10, v0
	v_cmp_nlt_f32_e32 vcc, s2, v3
	s_nop 1
	v_cndmask_b32_e32 v5, v7, v6, vcc
	v_fmac_f32_e32 v5, v1, v0
	v_mul_u32_u24_e32 v0, 0x10001, v10
	v_pk_mul_f16 v52, v52, v0
	v_pk_mul_f16 v51, v51, v0
	v_mov_b64_e32 v[0:1], v[4:5]
	s_branch .LBB16_15
.LBB16_14:
	v_mov_b32_e32 v5, v1
.LBB16_15:
	s_load_dword s2, s[0:1], 0xd4
	v_div_scale_f32 v3, s[0:1], v5, v5, 1.0
	v_rcp_f32_e32 v4, v3
	s_mul_i32 s33, s33, s22
	s_waitcnt lgkmcnt(0)
	s_cmp_lg_u32 s2, 1
	s_cselect_b64 s[0:1], -1, 0
	v_fma_f32 v10, -v3, v4, 1.0
	v_fmac_f32_e32 v4, v10, v4
	v_div_scale_f32 v10, vcc, 1.0, v5, 1.0
	v_mul_f32_e32 v11, v10, v4
	v_fma_f32 v12, -v3, v11, v10
	v_fmac_f32_e32 v11, v12, v4
	v_fma_f32 v3, -v3, v11, v10
	v_div_fmas_f32 v3, v3, v4, v11
	v_div_fixup_f32 v3, v3, v5, 1.0
	v_cndmask_b32_e64 v10, v3, 1.0, s[0:1]
	v_add_u32_e32 v3, s33, v9
	v_mad_u64_u32 v[2:3], s[4:5], v3, s23, v[2:3]
	v_cmp_eq_u32_e32 vcc, 0, v8
	v_cvt_f32_f16_sdwa v9, v52 dst_sel:DWORD dst_unused:UNUSED_PAD src0_sel:WORD_1
	v_cvt_f32_f16_e32 v8, v52
	v_cvt_f32_f16_sdwa v13, v51 dst_sel:DWORD dst_unused:UNUSED_PAD src0_sel:WORD_1
	v_cvt_f32_f16_e32 v12, v51
	v_mul_lo_u32 v2, s2, v2
	v_add_u32_e32 v2, s3, v2
	v_mov_b32_e32 v6, s16
	v_mov_b32_e32 v7, s17
	v_lshl_add_u32 v4, v2, 7, v31
	v_mov_b32_e32 v5, 0
	v_lshl_add_u64 v[14:15], v[4:5], 2, v[6:7]
	s_and_b64 s[0:1], vcc, s[0:1]
	v_pk_mul_f32 v[4:5], v[10:11], v[8:9] op_sel_hi:[0,1]
	v_pk_mul_f32 v[6:7], v[10:11], v[12:13] op_sel_hi:[0,1]
	global_store_dwordx4 v[14:15], v[4:7], off
	s_and_saveexec_b64 s[2:3], s[0:1]
	s_cbranch_execz .LBB16_17
; %bb.16:
	v_mov_b32_e32 v4, s18
	v_mov_b32_e32 v5, s19
	v_ashrrev_i32_e32 v3, 31, v2
	v_lshl_add_u64 v[2:3], v[2:3], 3, v[4:5]
	global_store_dwordx2 v[2:3], v[0:1], off
.LBB16_17:
	s_endpgm
	.section	.rodata,"a",@progbits
	.p2align	6, 0x0
	.amdhsa_kernel _ZL15flash_attn_tileILi192ELi128ELi1ELi8ELb0EEvPKcS1_S1_S1_S1_PKiPfP15HIP_vector_typeIfLj2EEffffjfiS5_IjLj3EEiiiiiiiiiiiliiliiiiil
		.amdhsa_group_segment_fixed_size 13312
		.amdhsa_private_segment_fixed_size 0
		.amdhsa_kernarg_size 464
		.amdhsa_user_sgpr_count 2
		.amdhsa_user_sgpr_dispatch_ptr 0
		.amdhsa_user_sgpr_queue_ptr 0
		.amdhsa_user_sgpr_kernarg_segment_ptr 1
		.amdhsa_user_sgpr_dispatch_id 0
		.amdhsa_user_sgpr_kernarg_preload_length 0
		.amdhsa_user_sgpr_kernarg_preload_offset 0
		.amdhsa_user_sgpr_private_segment_size 0
		.amdhsa_uses_dynamic_stack 0
		.amdhsa_enable_private_segment 0
		.amdhsa_system_sgpr_workgroup_id_x 1
		.amdhsa_system_sgpr_workgroup_id_y 1
		.amdhsa_system_sgpr_workgroup_id_z 1
		.amdhsa_system_sgpr_workgroup_info 0
		.amdhsa_system_vgpr_workitem_id 1
		.amdhsa_next_free_vgpr 66
		.amdhsa_next_free_sgpr 39
		.amdhsa_accum_offset 68
		.amdhsa_reserve_vcc 1
		.amdhsa_float_round_mode_32 0
		.amdhsa_float_round_mode_16_64 0
		.amdhsa_float_denorm_mode_32 3
		.amdhsa_float_denorm_mode_16_64 3
		.amdhsa_dx10_clamp 1
		.amdhsa_ieee_mode 1
		.amdhsa_fp16_overflow 0
		.amdhsa_tg_split 0
		.amdhsa_exception_fp_ieee_invalid_op 0
		.amdhsa_exception_fp_denorm_src 0
		.amdhsa_exception_fp_ieee_div_zero 0
		.amdhsa_exception_fp_ieee_overflow 0
		.amdhsa_exception_fp_ieee_underflow 0
		.amdhsa_exception_fp_ieee_inexact 0
		.amdhsa_exception_int_div_zero 0
	.end_amdhsa_kernel
	.section	.text._ZL15flash_attn_tileILi192ELi128ELi1ELi8ELb0EEvPKcS1_S1_S1_S1_PKiPfP15HIP_vector_typeIfLj2EEffffjfiS5_IjLj3EEiiiiiiiiiiiliiliiiiil,"axG",@progbits,_ZL15flash_attn_tileILi192ELi128ELi1ELi8ELb0EEvPKcS1_S1_S1_S1_PKiPfP15HIP_vector_typeIfLj2EEffffjfiS5_IjLj3EEiiiiiiiiiiiliiliiiiil,comdat
.Lfunc_end16:
	.size	_ZL15flash_attn_tileILi192ELi128ELi1ELi8ELb0EEvPKcS1_S1_S1_S1_PKiPfP15HIP_vector_typeIfLj2EEffffjfiS5_IjLj3EEiiiiiiiiiiiliiliiiiil, .Lfunc_end16-_ZL15flash_attn_tileILi192ELi128ELi1ELi8ELb0EEvPKcS1_S1_S1_S1_PKiPfP15HIP_vector_typeIfLj2EEffffjfiS5_IjLj3EEiiiiiiiiiiiliiliiiiil
                                        ; -- End function
	.set _ZL15flash_attn_tileILi192ELi128ELi1ELi8ELb0EEvPKcS1_S1_S1_S1_PKiPfP15HIP_vector_typeIfLj2EEffffjfiS5_IjLj3EEiiiiiiiiiiiliiliiiiil.num_vgpr, 66
	.set _ZL15flash_attn_tileILi192ELi128ELi1ELi8ELb0EEvPKcS1_S1_S1_S1_PKiPfP15HIP_vector_typeIfLj2EEffffjfiS5_IjLj3EEiiiiiiiiiiiliiliiiiil.num_agpr, 0
	.set _ZL15flash_attn_tileILi192ELi128ELi1ELi8ELb0EEvPKcS1_S1_S1_S1_PKiPfP15HIP_vector_typeIfLj2EEffffjfiS5_IjLj3EEiiiiiiiiiiiliiliiiiil.numbered_sgpr, 39
	.set _ZL15flash_attn_tileILi192ELi128ELi1ELi8ELb0EEvPKcS1_S1_S1_S1_PKiPfP15HIP_vector_typeIfLj2EEffffjfiS5_IjLj3EEiiiiiiiiiiiliiliiiiil.num_named_barrier, 0
	.set _ZL15flash_attn_tileILi192ELi128ELi1ELi8ELb0EEvPKcS1_S1_S1_S1_PKiPfP15HIP_vector_typeIfLj2EEffffjfiS5_IjLj3EEiiiiiiiiiiiliiliiiiil.private_seg_size, 0
	.set _ZL15flash_attn_tileILi192ELi128ELi1ELi8ELb0EEvPKcS1_S1_S1_S1_PKiPfP15HIP_vector_typeIfLj2EEffffjfiS5_IjLj3EEiiiiiiiiiiiliiliiiiil.uses_vcc, 1
	.set _ZL15flash_attn_tileILi192ELi128ELi1ELi8ELb0EEvPKcS1_S1_S1_S1_PKiPfP15HIP_vector_typeIfLj2EEffffjfiS5_IjLj3EEiiiiiiiiiiiliiliiiiil.uses_flat_scratch, 0
	.set _ZL15flash_attn_tileILi192ELi128ELi1ELi8ELb0EEvPKcS1_S1_S1_S1_PKiPfP15HIP_vector_typeIfLj2EEffffjfiS5_IjLj3EEiiiiiiiiiiiliiliiiiil.has_dyn_sized_stack, 0
	.set _ZL15flash_attn_tileILi192ELi128ELi1ELi8ELb0EEvPKcS1_S1_S1_S1_PKiPfP15HIP_vector_typeIfLj2EEffffjfiS5_IjLj3EEiiiiiiiiiiiliiliiiiil.has_recursion, 0
	.set _ZL15flash_attn_tileILi192ELi128ELi1ELi8ELb0EEvPKcS1_S1_S1_S1_PKiPfP15HIP_vector_typeIfLj2EEffffjfiS5_IjLj3EEiiiiiiiiiiiliiliiiiil.has_indirect_call, 0
	.section	.AMDGPU.csdata,"",@progbits
; Kernel info:
; codeLenInByte = 9704
; TotalNumSgprs: 45
; NumVgprs: 66
; NumAgprs: 0
; TotalNumVgprs: 66
; ScratchSize: 0
; MemoryBound: 0
; FloatMode: 240
; IeeeMode: 1
; LDSByteSize: 13312 bytes/workgroup (compile time only)
; SGPRBlocks: 5
; VGPRBlocks: 8
; NumSGPRsForWavesPerEU: 45
; NumVGPRsForWavesPerEU: 66
; AccumOffset: 68
; Occupancy: 7
; WaveLimiterHint : 1
; COMPUTE_PGM_RSRC2:SCRATCH_EN: 0
; COMPUTE_PGM_RSRC2:USER_SGPR: 2
; COMPUTE_PGM_RSRC2:TRAP_HANDLER: 0
; COMPUTE_PGM_RSRC2:TGID_X_EN: 1
; COMPUTE_PGM_RSRC2:TGID_Y_EN: 1
; COMPUTE_PGM_RSRC2:TGID_Z_EN: 1
; COMPUTE_PGM_RSRC2:TIDIG_COMP_CNT: 1
; COMPUTE_PGM_RSRC3_GFX90A:ACCUM_OFFSET: 16
; COMPUTE_PGM_RSRC3_GFX90A:TG_SPLIT: 0
	.section	.text._ZL33flash_attn_stream_k_fixup_uniformILi128ELi1ELi8EEvPfPK15HIP_vector_typeIfLj2EEiiiiiiS1_IjLj3EES5_S5_,"axG",@progbits,_ZL33flash_attn_stream_k_fixup_uniformILi128ELi1ELi8EEvPfPK15HIP_vector_typeIfLj2EEiiiiiiS1_IjLj3EES5_S5_,comdat
	.globl	_ZL33flash_attn_stream_k_fixup_uniformILi128ELi1ELi8EEvPfPK15HIP_vector_typeIfLj2EEiiiiiiS1_IjLj3EES5_S5_ ; -- Begin function _ZL33flash_attn_stream_k_fixup_uniformILi128ELi1ELi8EEvPfPK15HIP_vector_typeIfLj2EEiiiiiiS1_IjLj3EES5_S5_
	.p2align	8
	.type	_ZL33flash_attn_stream_k_fixup_uniformILi128ELi1ELi8EEvPfPK15HIP_vector_typeIfLj2EEiiiiiiS1_IjLj3EES5_S5_,@function
_ZL33flash_attn_stream_k_fixup_uniformILi128ELi1ELi8EEvPfPK15HIP_vector_typeIfLj2EEiiiiiiS1_IjLj3EES5_S5_: ; @_ZL33flash_attn_stream_k_fixup_uniformILi128ELi1ELi8EEvPfPK15HIP_vector_typeIfLj2EEiiiiiiS1_IjLj3EES5_S5_
; %bb.0:
	s_load_dwordx8 s[8:15], s[0:1], 0x1c
	s_load_dwordx2 s[6:7], s[0:1], 0x10
	s_load_dwordx4 s[16:19], s[0:1], 0x3c
	s_waitcnt lgkmcnt(0)
	s_mul_hi_u32 s5, s11, s2
	s_add_i32 s5, s2, s5
	s_lshr_b32 s5, s5, s12
	s_mul_i32 s11, s5, s13
	s_sub_i32 s12, s2, s11
	s_mul_hi_u32 s11, s12, s14
	s_add_i32 s11, s12, s11
	s_lshr_b32 s11, s11, s15
	s_mul_i32 s13, s11, s16
	s_sub_i32 s12, s12, s13
	;; [unrolled: 5-line block ×3, first 2 shown]
	s_lshl_b32 s16, s13, 3
	s_add_i32 s17, s17, s3
	s_cmp_lt_i32 s17, s6
	s_cselect_b64 s[12:13], -1, 0
	s_add_i32 s16, s16, s4
	s_cmp_lt_i32 s16, s9
	s_cselect_b64 s[14:15], -1, 0
	s_and_b64 s[12:13], s[12:13], s[14:15]
	s_andn2_b64 vcc, exec, s[12:13]
	s_cbranch_vccnz .LBB17_6
; %bb.1:
	s_load_dwordx4 s[12:15], s[0:1], 0x0
	s_mul_i32 s5, s5, s6
	s_mul_i32 s11, s11, s9
	s_add_i32 s0, s17, s5
	s_mul_i32 s0, s0, s7
	s_add_i32 s1, s16, s11
	s_add_i32 s1, s1, s0
	v_lshl_or_b32 v4, s1, 7, v0
	s_waitcnt lgkmcnt(0)
	v_mov_b32_e32 v2, s12
	v_mov_b32_e32 v3, s13
	v_ashrrev_i32_e32 v5, 31, v4
	v_lshl_add_u64 v[2:3], v[4:5], 2, v[2:3]
	global_load_dword v5, v[2:3], off
	s_mul_i32 s9, s10, s2
	s_add_i32 s5, s9, s10
	s_add_i32 s0, s3, s5
	s_lshl_b32 s0, s0, 3
	s_add_i32 s0, s0, s4
	s_add_i32 s0, s0, -8
	s_ashr_i32 s1, s0, 31
	s_lshl_b64 s[0:1], s[0:1], 3
	s_add_u32 s0, s14, s0
	s_addc_u32 s1, s15, s1
	s_load_dword s12, s[0:1], 0x4
	s_add_i32 s6, s5, -2
	s_cmp_lt_i32 s6, s9
	s_cbranch_scc1 .LBB17_4
; %bb.2:
	s_lshl_b32 s6, s8, 5
	s_ashr_i32 s7, s6, 31
	s_lshl_b64 s[6:7], s[6:7], 2
	s_add_u32 s6, s14, s6
	s_addc_u32 s7, s15, s7
	s_load_dword s0, s[0:1], 0x0
	s_add_i32 s2, s2, 1
	s_lshl_b32 s1, s4, 7
	s_add_i32 s8, s3, s8
	s_mul_i32 s2, s10, s2
	s_lshl_b32 s3, s3, 10
	s_add_i32 s8, s8, s5
	s_lshl_b32 s2, s2, 10
	s_add_i32 s1, s1, s3
	s_add_i32 s11, s5, -1
	s_lshl_b32 s5, s8, 3
	s_add_i32 s1, s1, s2
	s_add_i32 s4, s4, s5
	v_or_b32_e32 v0, s1, v0
	s_add_i32 s4, s4, -16
	v_add_u32_e32 v0, 0xfffff800, v0
	s_waitcnt lgkmcnt(0)
	v_mov_b32_e32 v7, s0
	v_mov_b32_e32 v4, s12
	s_mov_b32 s2, 0x3fb8aa3b
	s_mov_b32 s3, 0xc2ce8ed0
	;; [unrolled: 1-line block ×3, first 2 shown]
	v_mov_b32_e32 v6, 0x7f800000
	s_mov_b32 s10, 0xc1a00000
.LBB17_3:                               ; =>This Inner Loop Header: Depth=1
	v_ashrrev_i32_e32 v1, 31, v0
	v_lshl_add_u64 v[8:9], v[0:1], 2, s[6:7]
	global_load_dword v9, v[8:9], off
	s_ashr_i32 s5, s4, 31
	s_lshl_b64 s[0:1], s[4:5], 3
	s_add_u32 s0, s14, s0
	s_addc_u32 s1, s15, s1
	s_load_dwordx2 s[0:1], s[0:1], 0x0
	v_max_f32_e32 v1, v7, v7
	s_add_i32 s11, s11, -1
	s_add_i32 s4, s4, -8
	v_add_u32_e32 v0, 0xfffffc00, v0
	s_waitcnt lgkmcnt(0)
	v_max_f32_e64 v10, s0, s0
	v_max_f32_e32 v1, v1, v10
	v_sub_f32_e32 v11, s0, v1
	v_sub_f32_e32 v10, v7, v1
	v_mul_f32_e32 v12, 0x3fb8aa3b, v11
	v_mov_b32_e32 v7, v1
	v_mul_f32_e32 v1, 0x3fb8aa3b, v10
	v_fma_f32 v15, v11, s2, -v12
	v_rndne_f32_e32 v16, v12
	v_fma_f32 v13, v10, s2, -v1
	v_rndne_f32_e32 v14, v1
	v_fmac_f32_e32 v15, 0x32a5705f, v11
	v_sub_f32_e32 v12, v12, v16
	v_fmac_f32_e32 v13, 0x32a5705f, v10
	v_sub_f32_e32 v1, v1, v14
	v_add_f32_e32 v12, v12, v15
	v_cvt_i32_f32_e32 v16, v16
	v_add_f32_e32 v1, v1, v13
	v_exp_f32_e32 v12, v12
	v_cvt_i32_f32_e32 v14, v14
	v_exp_f32_e32 v1, v1
	v_cmp_ngt_f32_e32 vcc, s3, v11
	v_ldexp_f32 v12, v12, v16
	v_mov_b32_e32 v8, s1
	v_ldexp_f32 v1, v1, v14
	v_cmp_ngt_f32_e64 s[0:1], s3, v10
	v_cndmask_b32_e32 v12, 0, v12, vcc
	v_cmp_nlt_f32_e32 vcc, s8, v11
	v_cndmask_b32_e64 v1, 0, v1, s[0:1]
	v_cmp_nlt_f32_e64 s[0:1], s8, v10
	v_cndmask_b32_e32 v12, v6, v12, vcc
	v_cmp_le_f32_e32 vcc, s10, v11
	v_cndmask_b32_e64 v1, v6, v1, s[0:1]
	v_cmp_le_f32_e64 s[0:1], s10, v10
	v_cndmask_b32_e32 v12, 0, v12, vcc
	s_cmp_le_i32 s11, s9
	v_cndmask_b32_e64 v10, 0, v1, s[0:1]
	s_waitcnt vmcnt(0)
	v_pk_mul_f32 v[8:9], v[8:9], v[12:13] op_sel_hi:[1,0]
	s_nop 0
	v_pk_fma_f32 v[4:5], v[4:5], v[10:11], v[8:9] op_sel_hi:[1,0,1]
	s_cbranch_scc0 .LBB17_3
	s_branch .LBB17_5
.LBB17_4:
	s_waitcnt lgkmcnt(0)
	v_mov_b32_e32 v4, s12
.LBB17_5:
	s_waitcnt vmcnt(0)
	v_div_scale_f32 v0, s[0:1], v4, v4, v5
	v_rcp_f32_e32 v1, v0
	v_div_scale_f32 v6, vcc, v5, v4, v5
	v_fma_f32 v7, -v0, v1, 1.0
	v_fmac_f32_e32 v1, v7, v1
	v_mul_f32_e32 v7, v6, v1
	v_fma_f32 v8, -v0, v7, v6
	v_fmac_f32_e32 v7, v8, v1
	v_fma_f32 v0, -v0, v7, v6
	v_div_fmas_f32 v0, v0, v1, v7
	v_div_fixup_f32 v0, v0, v4, v5
	global_store_dword v[2:3], v0, off
.LBB17_6:
	s_endpgm
	.section	.rodata,"a",@progbits
	.p2align	6, 0x0
	.amdhsa_kernel _ZL33flash_attn_stream_k_fixup_uniformILi128ELi1ELi8EEvPfPK15HIP_vector_typeIfLj2EEiiiiiiS1_IjLj3EES5_S5_
		.amdhsa_group_segment_fixed_size 0
		.amdhsa_private_segment_fixed_size 0
		.amdhsa_kernarg_size 76
		.amdhsa_user_sgpr_count 2
		.amdhsa_user_sgpr_dispatch_ptr 0
		.amdhsa_user_sgpr_queue_ptr 0
		.amdhsa_user_sgpr_kernarg_segment_ptr 1
		.amdhsa_user_sgpr_dispatch_id 0
		.amdhsa_user_sgpr_kernarg_preload_length 0
		.amdhsa_user_sgpr_kernarg_preload_offset 0
		.amdhsa_user_sgpr_private_segment_size 0
		.amdhsa_uses_dynamic_stack 0
		.amdhsa_enable_private_segment 0
		.amdhsa_system_sgpr_workgroup_id_x 1
		.amdhsa_system_sgpr_workgroup_id_y 1
		.amdhsa_system_sgpr_workgroup_id_z 1
		.amdhsa_system_sgpr_workgroup_info 0
		.amdhsa_system_vgpr_workitem_id 0
		.amdhsa_next_free_vgpr 17
		.amdhsa_next_free_sgpr 20
		.amdhsa_accum_offset 20
		.amdhsa_reserve_vcc 1
		.amdhsa_float_round_mode_32 0
		.amdhsa_float_round_mode_16_64 0
		.amdhsa_float_denorm_mode_32 3
		.amdhsa_float_denorm_mode_16_64 3
		.amdhsa_dx10_clamp 1
		.amdhsa_ieee_mode 1
		.amdhsa_fp16_overflow 0
		.amdhsa_tg_split 0
		.amdhsa_exception_fp_ieee_invalid_op 0
		.amdhsa_exception_fp_denorm_src 0
		.amdhsa_exception_fp_ieee_div_zero 0
		.amdhsa_exception_fp_ieee_overflow 0
		.amdhsa_exception_fp_ieee_underflow 0
		.amdhsa_exception_fp_ieee_inexact 0
		.amdhsa_exception_int_div_zero 0
	.end_amdhsa_kernel
	.section	.text._ZL33flash_attn_stream_k_fixup_uniformILi128ELi1ELi8EEvPfPK15HIP_vector_typeIfLj2EEiiiiiiS1_IjLj3EES5_S5_,"axG",@progbits,_ZL33flash_attn_stream_k_fixup_uniformILi128ELi1ELi8EEvPfPK15HIP_vector_typeIfLj2EEiiiiiiS1_IjLj3EES5_S5_,comdat
.Lfunc_end17:
	.size	_ZL33flash_attn_stream_k_fixup_uniformILi128ELi1ELi8EEvPfPK15HIP_vector_typeIfLj2EEiiiiiiS1_IjLj3EES5_S5_, .Lfunc_end17-_ZL33flash_attn_stream_k_fixup_uniformILi128ELi1ELi8EEvPfPK15HIP_vector_typeIfLj2EEiiiiiiS1_IjLj3EES5_S5_
                                        ; -- End function
	.set _ZL33flash_attn_stream_k_fixup_uniformILi128ELi1ELi8EEvPfPK15HIP_vector_typeIfLj2EEiiiiiiS1_IjLj3EES5_S5_.num_vgpr, 17
	.set _ZL33flash_attn_stream_k_fixup_uniformILi128ELi1ELi8EEvPfPK15HIP_vector_typeIfLj2EEiiiiiiS1_IjLj3EES5_S5_.num_agpr, 0
	.set _ZL33flash_attn_stream_k_fixup_uniformILi128ELi1ELi8EEvPfPK15HIP_vector_typeIfLj2EEiiiiiiS1_IjLj3EES5_S5_.numbered_sgpr, 20
	.set _ZL33flash_attn_stream_k_fixup_uniformILi128ELi1ELi8EEvPfPK15HIP_vector_typeIfLj2EEiiiiiiS1_IjLj3EES5_S5_.num_named_barrier, 0
	.set _ZL33flash_attn_stream_k_fixup_uniformILi128ELi1ELi8EEvPfPK15HIP_vector_typeIfLj2EEiiiiiiS1_IjLj3EES5_S5_.private_seg_size, 0
	.set _ZL33flash_attn_stream_k_fixup_uniformILi128ELi1ELi8EEvPfPK15HIP_vector_typeIfLj2EEiiiiiiS1_IjLj3EES5_S5_.uses_vcc, 1
	.set _ZL33flash_attn_stream_k_fixup_uniformILi128ELi1ELi8EEvPfPK15HIP_vector_typeIfLj2EEiiiiiiS1_IjLj3EES5_S5_.uses_flat_scratch, 0
	.set _ZL33flash_attn_stream_k_fixup_uniformILi128ELi1ELi8EEvPfPK15HIP_vector_typeIfLj2EEiiiiiiS1_IjLj3EES5_S5_.has_dyn_sized_stack, 0
	.set _ZL33flash_attn_stream_k_fixup_uniformILi128ELi1ELi8EEvPfPK15HIP_vector_typeIfLj2EEiiiiiiS1_IjLj3EES5_S5_.has_recursion, 0
	.set _ZL33flash_attn_stream_k_fixup_uniformILi128ELi1ELi8EEvPfPK15HIP_vector_typeIfLj2EEiiiiiiS1_IjLj3EES5_S5_.has_indirect_call, 0
	.section	.AMDGPU.csdata,"",@progbits
; Kernel info:
; codeLenInByte = 808
; TotalNumSgprs: 26
; NumVgprs: 17
; NumAgprs: 0
; TotalNumVgprs: 17
; ScratchSize: 0
; MemoryBound: 0
; FloatMode: 240
; IeeeMode: 1
; LDSByteSize: 0 bytes/workgroup (compile time only)
; SGPRBlocks: 3
; VGPRBlocks: 2
; NumSGPRsForWavesPerEU: 26
; NumVGPRsForWavesPerEU: 17
; AccumOffset: 20
; Occupancy: 8
; WaveLimiterHint : 0
; COMPUTE_PGM_RSRC2:SCRATCH_EN: 0
; COMPUTE_PGM_RSRC2:USER_SGPR: 2
; COMPUTE_PGM_RSRC2:TRAP_HANDLER: 0
; COMPUTE_PGM_RSRC2:TGID_X_EN: 1
; COMPUTE_PGM_RSRC2:TGID_Y_EN: 1
; COMPUTE_PGM_RSRC2:TGID_Z_EN: 1
; COMPUTE_PGM_RSRC2:TIDIG_COMP_CNT: 0
; COMPUTE_PGM_RSRC3_GFX90A:ACCUM_OFFSET: 4
; COMPUTE_PGM_RSRC3_GFX90A:TG_SPLIT: 0
	.section	.text._ZL33flash_attn_stream_k_fixup_generalILi128ELi1ELi8EEvPfPK15HIP_vector_typeIfLj2EEiiiiS1_IjLj3EES5_S5_S5_,"axG",@progbits,_ZL33flash_attn_stream_k_fixup_generalILi128ELi1ELi8EEvPfPK15HIP_vector_typeIfLj2EEiiiiS1_IjLj3EES5_S5_S5_,comdat
	.globl	_ZL33flash_attn_stream_k_fixup_generalILi128ELi1ELi8EEvPfPK15HIP_vector_typeIfLj2EEiiiiS1_IjLj3EES5_S5_S5_ ; -- Begin function _ZL33flash_attn_stream_k_fixup_generalILi128ELi1ELi8EEvPfPK15HIP_vector_typeIfLj2EEiiiiS1_IjLj3EES5_S5_S5_
	.p2align	8
	.type	_ZL33flash_attn_stream_k_fixup_generalILi128ELi1ELi8EEvPfPK15HIP_vector_typeIfLj2EEiiiiS1_IjLj3EES5_S5_S5_,@function
_ZL33flash_attn_stream_k_fixup_generalILi128ELi1ELi8EEvPfPK15HIP_vector_typeIfLj2EEiiiiS1_IjLj3EES5_S5_S5_: ; @_ZL33flash_attn_stream_k_fixup_generalILi128ELi1ELi8EEvPfPK15HIP_vector_typeIfLj2EEiiiiS1_IjLj3EES5_S5_S5_
; %bb.0:
	s_load_dwordx4 s[8:11], s[0:1], 0x10
	s_load_dword s5, s[0:1], 0x50
	s_mov_b32 s12, 0
	s_waitcnt lgkmcnt(0)
	s_mul_hi_i32 s13, s11, s2
	s_cmp_lg_u64 s[12:13], 0
	s_mul_i32 s18, s11, s2
	s_cbranch_scc0 .LBB18_20
; %bb.1:
	s_add_u32 s6, s5, 0
	s_addc_u32 s7, 0, 0
	s_xor_b64 s[6:7], s[6:7], 0
	v_cvt_f32_u32_e32 v1, s6
	v_cvt_f32_u32_e32 v2, s7
	s_sub_u32 s12, 0, s6
	s_subb_u32 s19, 0, s7
	v_fmamk_f32 v1, v2, 0x4f800000, v1
	v_rcp_f32_e32 v1, v1
	s_nop 0
	v_mul_f32_e32 v1, 0x5f7ffffc, v1
	v_mul_f32_e32 v2, 0x2f800000, v1
	v_trunc_f32_e32 v2, v2
	v_fmamk_f32 v1, v2, 0xcf800000, v1
	v_cvt_u32_f32_e32 v2, v2
	v_cvt_u32_f32_e32 v1, v1
	v_readfirstlane_b32 s20, v2
	v_readfirstlane_b32 s14, v1
	s_mul_i32 s15, s12, s20
	s_mul_hi_u32 s22, s12, s14
	s_mul_i32 s21, s19, s14
	s_add_i32 s15, s22, s15
	s_add_i32 s15, s15, s21
	s_mul_i32 s23, s12, s14
	s_mul_i32 s22, s14, s15
	s_mul_hi_u32 s24, s14, s23
	s_mul_hi_u32 s21, s14, s15
	s_add_u32 s22, s24, s22
	s_addc_u32 s21, 0, s21
	s_mul_hi_u32 s25, s20, s23
	s_mul_i32 s23, s20, s23
	s_add_u32 s22, s22, s23
	s_mul_hi_u32 s24, s20, s15
	s_addc_u32 s21, s21, s25
	s_addc_u32 s22, s24, 0
	s_mul_i32 s15, s20, s15
	s_add_u32 s15, s21, s15
	s_addc_u32 s21, 0, s22
	s_add_u32 s22, s14, s15
	s_cselect_b64 s[14:15], -1, 0
	s_cmp_lg_u64 s[14:15], 0
	s_addc_u32 s20, s20, s21
	s_mul_i32 s14, s12, s20
	s_mul_hi_u32 s15, s12, s22
	s_add_i32 s14, s15, s14
	s_mul_i32 s19, s19, s22
	s_add_i32 s14, s14, s19
	s_mul_i32 s12, s12, s22
	s_mul_hi_u32 s19, s20, s12
	s_mul_i32 s21, s20, s12
	s_mul_i32 s24, s22, s14
	s_mul_hi_u32 s12, s22, s12
	s_mul_hi_u32 s23, s22, s14
	s_add_u32 s12, s12, s24
	s_addc_u32 s23, 0, s23
	s_add_u32 s12, s12, s21
	s_mul_hi_u32 s15, s20, s14
	s_addc_u32 s12, s23, s19
	s_addc_u32 s15, s15, 0
	s_mul_i32 s14, s20, s14
	s_add_u32 s12, s12, s14
	s_addc_u32 s19, 0, s15
	s_add_u32 s21, s22, s12
	s_cselect_b64 s[14:15], -1, 0
	s_cmp_lg_u64 s[14:15], 0
	s_addc_u32 s19, s20, s19
	s_ashr_i32 s14, s13, 31
	s_add_u32 s12, s18, s14
	s_mov_b32 s15, s14
	s_addc_u32 s13, s13, s14
	s_xor_b64 s[12:13], s[12:13], s[14:15]
	s_mul_i32 s22, s12, s19
	s_mul_hi_u32 s23, s12, s21
	s_mul_hi_u32 s20, s12, s19
	s_add_u32 s22, s23, s22
	s_addc_u32 s20, 0, s20
	s_mul_hi_u32 s24, s13, s21
	s_mul_i32 s21, s13, s21
	s_add_u32 s21, s22, s21
	s_mul_hi_u32 s23, s13, s19
	s_addc_u32 s20, s20, s24
	s_addc_u32 s21, s23, 0
	s_mul_i32 s19, s13, s19
	s_add_u32 s19, s20, s19
	s_addc_u32 s24, 0, s21
	s_mul_i32 s20, s6, s24
	s_mul_hi_u32 s21, s6, s19
	s_add_i32 s20, s21, s20
	s_mul_i32 s21, s7, s19
	s_add_i32 s25, s20, s21
	s_sub_i32 s22, s13, s25
	s_mul_i32 s20, s6, s19
	s_sub_u32 s12, s12, s20
	s_cselect_b64 s[20:21], -1, 0
	s_cmp_lg_u64 s[20:21], 0
	s_subb_u32 s26, s22, s7
	s_sub_u32 s27, s12, s6
	s_cselect_b64 s[22:23], -1, 0
	s_cmp_lg_u64 s[22:23], 0
	s_subb_u32 s22, s26, 0
	s_cmp_ge_u32 s22, s7
	s_cselect_b32 s23, -1, 0
	s_cmp_ge_u32 s27, s6
	s_cselect_b32 s26, -1, 0
	s_cmp_eq_u32 s22, s7
	s_cselect_b32 s22, s26, s23
	s_add_u32 s23, s19, 1
	s_addc_u32 s26, s24, 0
	s_add_u32 s27, s19, 2
	s_addc_u32 s28, s24, 0
	s_cmp_lg_u32 s22, 0
	s_cselect_b32 s22, s27, s23
	s_cselect_b32 s23, s28, s26
	s_cmp_lg_u64 s[20:21], 0
	s_subb_u32 s13, s13, s25
	s_cmp_ge_u32 s13, s7
	s_cselect_b32 s20, -1, 0
	s_cmp_ge_u32 s12, s6
	s_cselect_b32 s6, -1, 0
	s_cmp_eq_u32 s13, s7
	s_cselect_b32 s6, s6, s20
	s_cmp_lg_u32 s6, 0
	s_cselect_b32 s7, s23, s24
	s_cselect_b32 s6, s22, s19
	s_xor_b64 s[12:13], s[14:15], 0
	s_xor_b64 s[6:7], s[6:7], s[12:13]
	s_sub_u32 s6, s6, s12
	s_load_dwordx4 s[12:15], s[0:1], 0x44
	s_cbranch_execnz .LBB18_3
.LBB18_2:
	v_cvt_f32_u32_e32 v1, s5
	s_sub_i32 s6, 0, s5
	v_rcp_iflag_f32_e32 v1, v1
	s_nop 0
	v_mul_f32_e32 v1, 0x4f7ffffe, v1
	v_cvt_u32_f32_e32 v1, v1
	s_nop 0
	v_readfirstlane_b32 s7, v1
	s_mul_i32 s6, s6, s7
	s_mul_hi_u32 s6, s7, s6
	s_add_i32 s7, s7, s6
	s_mul_hi_u32 s6, s18, s7
	s_waitcnt lgkmcnt(0)
	s_mul_i32 s15, s6, s5
	s_sub_i32 s15, s18, s15
	s_add_i32 s7, s6, 1
	s_sub_i32 s16, s15, s5
	s_cmp_ge_u32 s15, s5
	s_cselect_b32 s6, s7, s6
	s_cselect_b32 s15, s16, s15
	s_add_i32 s7, s6, 1
	s_cmp_ge_u32 s15, s5
	s_cselect_b32 s6, s7, s6
.LBB18_3:
	s_add_i32 s7, s2, 1
	s_mul_hi_i32 s21, s11, s7
	s_mov_b32 s20, 0
	s_cmp_lg_u64 s[20:21], 0
	s_mul_i32 s7, s11, s7
	s_cbranch_scc0 .LBB18_21
; %bb.4:
	s_add_u32 s16, s5, 0
	s_addc_u32 s17, 0, 0
	s_xor_b64 s[18:19], s[16:17], 0
	v_cvt_f32_u32_e32 v1, s18
	v_cvt_f32_u32_e32 v2, s19
	s_waitcnt lgkmcnt(0)
	s_sub_u32 s15, 0, s18
	s_subb_u32 s20, 0, s19
	v_fmamk_f32 v1, v2, 0x4f800000, v1
	v_rcp_f32_e32 v1, v1
	s_nop 0
	v_mul_f32_e32 v1, 0x5f7ffffc, v1
	v_mul_f32_e32 v2, 0x2f800000, v1
	v_trunc_f32_e32 v2, v2
	v_fmamk_f32 v1, v2, 0xcf800000, v1
	v_cvt_u32_f32_e32 v2, v2
	v_cvt_u32_f32_e32 v1, v1
	v_readfirstlane_b32 s24, v2
	v_readfirstlane_b32 s22, v1
	s_mul_i32 s23, s15, s24
	s_mul_hi_u32 s26, s15, s22
	s_mul_i32 s25, s20, s22
	s_add_i32 s23, s26, s23
	s_add_i32 s23, s23, s25
	s_mul_i32 s27, s15, s22
	s_mul_i32 s26, s22, s23
	s_mul_hi_u32 s28, s22, s27
	s_mul_hi_u32 s25, s22, s23
	s_add_u32 s26, s28, s26
	s_addc_u32 s25, 0, s25
	s_mul_hi_u32 s29, s24, s27
	s_mul_i32 s27, s24, s27
	s_add_u32 s26, s26, s27
	s_mul_hi_u32 s28, s24, s23
	s_addc_u32 s25, s25, s29
	s_addc_u32 s26, s28, 0
	s_mul_i32 s23, s24, s23
	s_add_u32 s23, s25, s23
	s_addc_u32 s25, 0, s26
	s_add_u32 s26, s22, s23
	s_cselect_b64 s[22:23], -1, 0
	s_cmp_lg_u64 s[22:23], 0
	s_addc_u32 s24, s24, s25
	s_mul_i32 s22, s15, s24
	s_mul_hi_u32 s23, s15, s26
	s_add_i32 s22, s23, s22
	s_mul_i32 s20, s20, s26
	s_add_i32 s22, s22, s20
	s_mul_i32 s15, s15, s26
	s_mul_hi_u32 s23, s24, s15
	s_mul_i32 s25, s24, s15
	s_mul_i32 s28, s26, s22
	s_mul_hi_u32 s15, s26, s15
	s_mul_hi_u32 s27, s26, s22
	s_add_u32 s15, s15, s28
	s_addc_u32 s27, 0, s27
	s_add_u32 s15, s15, s25
	s_mul_hi_u32 s20, s24, s22
	s_addc_u32 s15, s27, s23
	s_addc_u32 s20, s20, 0
	s_mul_i32 s22, s24, s22
	s_add_u32 s15, s15, s22
	s_addc_u32 s20, 0, s20
	s_add_u32 s15, s26, s15
	s_cselect_b64 s[22:23], -1, 0
	s_cmp_lg_u64 s[22:23], 0
	s_addc_u32 s24, s24, s20
	s_ashr_i32 s22, s21, 31
	s_add_u32 s20, s7, s22
	s_mov_b32 s23, s22
	s_addc_u32 s21, s21, s22
	s_xor_b64 s[20:21], s[20:21], s[22:23]
	s_mul_i32 s26, s20, s24
	s_mul_hi_u32 s27, s20, s15
	s_mul_hi_u32 s25, s20, s24
	s_add_u32 s26, s27, s26
	s_addc_u32 s25, 0, s25
	s_mul_hi_u32 s28, s21, s15
	s_mul_i32 s15, s21, s15
	s_add_u32 s15, s26, s15
	s_mul_hi_u32 s27, s21, s24
	s_addc_u32 s15, s25, s28
	s_addc_u32 s25, s27, 0
	s_mul_i32 s24, s21, s24
	s_add_u32 s15, s15, s24
	s_addc_u32 s28, 0, s25
	s_mul_i32 s24, s18, s28
	s_mul_hi_u32 s25, s18, s15
	s_add_i32 s24, s25, s24
	s_mul_i32 s25, s19, s15
	s_add_i32 s29, s24, s25
	s_sub_i32 s26, s21, s29
	s_mul_i32 s24, s18, s15
	s_sub_u32 s20, s20, s24
	s_cselect_b64 s[24:25], -1, 0
	s_cmp_lg_u64 s[24:25], 0
	s_subb_u32 s30, s26, s19
	s_sub_u32 s31, s20, s18
	s_cselect_b64 s[26:27], -1, 0
	s_cmp_lg_u64 s[26:27], 0
	s_subb_u32 s26, s30, 0
	s_cmp_ge_u32 s26, s19
	s_cselect_b32 s27, -1, 0
	s_cmp_ge_u32 s31, s18
	s_cselect_b32 s30, -1, 0
	s_cmp_eq_u32 s26, s19
	s_cselect_b32 s26, s30, s27
	s_add_u32 s27, s15, 1
	s_addc_u32 s30, s28, 0
	s_add_u32 s31, s15, 2
	s_addc_u32 s33, s28, 0
	s_cmp_lg_u32 s26, 0
	s_cselect_b32 s26, s31, s27
	s_cselect_b32 s27, s33, s30
	s_cmp_lg_u64 s[24:25], 0
	s_subb_u32 s21, s21, s29
	s_cmp_ge_u32 s21, s19
	s_cselect_b32 s24, -1, 0
	s_cmp_ge_u32 s20, s18
	s_cselect_b32 s18, -1, 0
	s_cmp_eq_u32 s21, s19
	s_cselect_b32 s18, s18, s24
	s_cmp_lg_u32 s18, 0
	s_cselect_b32 s19, s27, s28
	s_cselect_b32 s18, s26, s15
	s_xor_b64 s[20:21], s[22:23], 0
	s_xor_b64 s[18:19], s[18:19], s[20:21]
	s_sub_u32 s18, s18, s20
	s_cbranch_execnz .LBB18_6
.LBB18_5:
	v_cvt_f32_u32_e32 v1, s5
	s_waitcnt lgkmcnt(0)
	s_sub_i32 s15, 0, s5
	v_rcp_iflag_f32_e32 v1, v1
	s_nop 0
	v_mul_f32_e32 v1, 0x4f7ffffe, v1
	v_cvt_u32_f32_e32 v1, v1
	s_nop 0
	v_readfirstlane_b32 s16, v1
	s_mul_i32 s15, s15, s16
	s_mul_hi_u32 s15, s16, s15
	s_add_i32 s16, s16, s15
	s_mul_hi_u32 s15, s7, s16
	s_mul_i32 s17, s15, s5
	s_sub_i32 s7, s7, s17
	s_add_i32 s16, s15, 1
	s_sub_i32 s17, s7, s5
	s_cmp_ge_u32 s7, s5
	s_cselect_b32 s15, s16, s15
	s_cselect_b32 s7, s17, s7
	s_add_i32 s16, s15, 1
	s_cmp_ge_u32 s7, s5
	s_cselect_b32 s18, s16, s15
.LBB18_6:
	s_cmp_eq_u32 s6, s18
	s_waitcnt lgkmcnt(0)
	s_mul_hi_u32 s7, s6, s12
	s_cselect_b64 s[16:17], -1, 0
	s_add_i32 s7, s7, s6
	s_lshr_b32 s7, s7, s13
	s_mul_i32 s15, s7, s14
	s_cmp_eq_u32 s15, s6
	s_mul_hi_u32 s15, s18, s12
	s_cselect_b64 s[20:21], -1, 0
	s_add_i32 s15, s15, s18
	s_lshr_b32 s15, s15, s13
	s_cmp_eq_u32 s7, s15
	s_mul_i32 s15, s15, s14
	s_cselect_b64 s[22:23], -1, 0
	s_cmp_lg_u32 s15, s18
	s_cselect_b64 s[18:19], -1, 0
	s_and_b64 s[18:19], s[22:23], s[18:19]
	s_or_b64 s[16:17], s[16:17], s[20:21]
	s_or_b64 s[16:17], s[16:17], s[18:19]
	s_and_b64 vcc, exec, s[16:17]
	s_cbranch_vccnz .LBB18_23
; %bb.7:
	s_load_dwordx8 s[16:23], s[0:1], 0x20
	s_load_dword s24, s[0:1], 0x40
	s_waitcnt lgkmcnt(0)
	s_mul_hi_u32 s15, s6, s16
	s_add_i32 s15, s15, s6
	s_lshr_b32 s15, s15, s17
	s_mul_i32 s16, s15, s18
	s_sub_i32 s16, s6, s16
	s_mul_hi_u32 s17, s16, s19
	s_add_i32 s17, s16, s17
	s_lshr_b32 s20, s17, s20
	s_mul_i32 s17, s20, s21
	s_sub_i32 s16, s16, s17
	;; [unrolled: 5-line block ×3, first 2 shown]
	s_lshl_b32 s22, s17, 3
	s_mul_hi_u32 s17, s16, s12
	s_add_i32 s16, s16, s17
	s_lshr_b32 s21, s16, s13
	s_add_i32 s21, s21, s3
	s_cmp_lt_i32 s21, s8
	s_cselect_b64 s[16:17], -1, 0
	s_add_i32 s22, s22, s4
	s_cmp_lt_i32 s22, s10
	s_cselect_b64 s[18:19], -1, 0
	s_and_b64 s[16:17], s[16:17], s[18:19]
	s_andn2_b64 vcc, exec, s[16:17]
	s_cbranch_vccnz .LBB18_23
; %bb.8:
	s_load_dwordx4 s[16:19], s[0:1], 0x0
	s_mov_b32 s0, 0
	s_lshl_b32 s24, s5, 5
	s_mov_b32 s25, s0
	s_mul_i32 s15, s15, s8
	s_waitcnt lgkmcnt(0)
	v_mov_b32_e32 v2, s16
	v_mov_b32_e32 v3, s17
	s_lshl_b64 s[16:17], s[24:25], 2
	s_add_u32 s16, s18, s16
	s_addc_u32 s17, s19, s17
	s_mul_i32 s20, s20, s10
	s_add_i32 s1, s21, s15
	s_mul_i32 s1, s1, s9
	s_add_i32 s8, s22, s20
	s_add_i32 s8, s8, s1
	v_lshl_or_b32 v4, s8, 7, v0
	v_ashrrev_i32_e32 v5, 31, v4
	v_lshl_add_u64 v[2:3], v[4:5], 2, v[2:3]
	global_load_dword v1, v[2:3], off
	s_add_i32 s1, s3, s2
	v_cvt_f32_u32_e32 v4, s5
	s_lshl_b32 s1, s1, 3
	s_add_i32 s8, s1, s4
	s_ashr_i32 s9, s8, 31
	s_lshl_b64 s[8:9], s[8:9], 3
	v_rcp_iflag_f32_e32 v4, v4
	s_add_u32 s8, s18, s8
	s_addc_u32 s9, s19, s9
	s_load_dwordx2 s[8:9], s[8:9], 0x0
	v_mul_f32_e32 v4, 0x4f7ffffe, v4
	v_cvt_u32_f32_e32 v7, v4
	s_add_i32 s25, s2, -1
	v_lshl_or_b32 v6, s4, 7, v0
	s_waitcnt lgkmcnt(0)
	v_mov_b32_e32 v0, s9
	v_mov_b32_e32 v9, s8
	s_mov_b32 s2, 0x3fb8aa3b
	s_mov_b32 s10, 0xc2ce8ed0
	s_mov_b32 s15, 0x42b17218
	s_mov_b32 s24, 0xc1a00000
	v_mov_b32_e32 v8, 0x7f800000
	s_mul_hi_i32 s1, s25, s11
	s_cmp_lg_u64 s[0:1], 0
	s_mul_i32 s22, s25, s11
	s_cbranch_scc0 .LBB18_19
.LBB18_9:
	s_add_u32 s8, s5, 0
	s_addc_u32 s9, 0, 0
	s_xor_b64 s[8:9], s[8:9], 0
	v_cvt_f32_u32_e32 v4, s8
	v_cvt_f32_u32_e32 v5, s9
	s_sub_u32 s23, 0, s8
	s_subb_u32 s26, 0, s9
	v_fmac_f32_e32 v4, 0x4f800000, v5
	v_rcp_f32_e32 v4, v4
	s_nop 0
	v_mul_f32_e32 v4, 0x5f7ffffc, v4
	v_mul_f32_e32 v5, 0x2f800000, v4
	v_trunc_f32_e32 v5, v5
	v_fmac_f32_e32 v4, 0xcf800000, v5
	v_cvt_u32_f32_e32 v5, v5
	v_cvt_u32_f32_e32 v4, v4
	v_readfirstlane_b32 s27, v5
	v_readfirstlane_b32 s20, v4
	s_mul_i32 s21, s23, s27
	s_mul_hi_u32 s29, s23, s20
	s_mul_i32 s28, s26, s20
	s_add_i32 s21, s29, s21
	s_mul_i32 s30, s23, s20
	s_add_i32 s21, s21, s28
	s_mul_i32 s29, s20, s21
	s_mul_hi_u32 s31, s20, s30
	s_mul_hi_u32 s28, s20, s21
	s_add_u32 s29, s31, s29
	s_addc_u32 s28, 0, s28
	s_mul_hi_u32 s33, s27, s30
	s_mul_i32 s30, s27, s30
	s_add_u32 s29, s29, s30
	s_mul_hi_u32 s31, s27, s21
	s_addc_u32 s28, s28, s33
	s_addc_u32 s29, s31, 0
	s_mul_i32 s21, s27, s21
	s_add_u32 s21, s28, s21
	s_addc_u32 s28, 0, s29
	s_add_u32 s29, s20, s21
	s_cselect_b64 s[20:21], -1, 0
	s_cmp_lg_u64 s[20:21], 0
	s_addc_u32 s27, s27, s28
	s_mul_i32 s20, s23, s27
	s_mul_hi_u32 s21, s23, s29
	s_add_i32 s20, s21, s20
	s_mul_i32 s26, s26, s29
	s_add_i32 s20, s20, s26
	s_mul_i32 s23, s23, s29
	s_mul_hi_u32 s26, s27, s23
	s_mul_i32 s28, s27, s23
	s_mul_i32 s31, s29, s20
	s_mul_hi_u32 s23, s29, s23
	s_mul_hi_u32 s30, s29, s20
	s_add_u32 s23, s23, s31
	s_addc_u32 s30, 0, s30
	s_add_u32 s23, s23, s28
	s_mul_hi_u32 s21, s27, s20
	s_addc_u32 s23, s30, s26
	s_addc_u32 s21, s21, 0
	s_mul_i32 s20, s27, s20
	s_add_u32 s20, s23, s20
	s_addc_u32 s23, 0, s21
	s_add_u32 s28, s29, s20
	s_cselect_b64 s[20:21], -1, 0
	s_cmp_lg_u64 s[20:21], 0
	s_addc_u32 s23, s27, s23
	s_ashr_i32 s20, s1, 31
	s_add_u32 s26, s22, s20
	s_mov_b32 s21, s20
	s_addc_u32 s27, s1, s20
	s_xor_b64 s[26:27], s[26:27], s[20:21]
	s_mul_i32 s29, s26, s23
	s_mul_hi_u32 s30, s26, s28
	s_mul_hi_u32 s1, s26, s23
	s_add_u32 s29, s30, s29
	s_addc_u32 s1, 0, s1
	s_mul_hi_u32 s31, s27, s28
	s_mul_i32 s28, s27, s28
	s_add_u32 s28, s29, s28
	s_mul_hi_u32 s30, s27, s23
	s_addc_u32 s1, s1, s31
	s_addc_u32 s28, s30, 0
	s_mul_i32 s23, s27, s23
	s_add_u32 s1, s1, s23
	s_addc_u32 s23, 0, s28
	s_mul_i32 s28, s8, s23
	s_mul_hi_u32 s29, s8, s1
	s_add_i32 s28, s29, s28
	s_mul_i32 s29, s9, s1
	s_add_i32 s33, s28, s29
	s_sub_i32 s30, s27, s33
	s_mul_i32 s28, s8, s1
	s_sub_u32 s26, s26, s28
	s_cselect_b64 s[28:29], -1, 0
	s_cmp_lg_u64 s[28:29], 0
	s_subb_u32 s34, s30, s9
	s_sub_u32 s35, s26, s8
	s_cselect_b64 s[30:31], -1, 0
	s_cmp_lg_u64 s[30:31], 0
	s_subb_u32 s30, s34, 0
	s_cmp_ge_u32 s30, s9
	s_cselect_b32 s31, -1, 0
	s_cmp_ge_u32 s35, s8
	s_cselect_b32 s34, -1, 0
	s_cmp_eq_u32 s30, s9
	s_cselect_b32 s30, s34, s31
	s_add_u32 s31, s1, 1
	s_addc_u32 s34, s23, 0
	s_add_u32 s35, s1, 2
	s_addc_u32 s36, s23, 0
	s_cmp_lg_u32 s30, 0
	s_cselect_b32 s30, s35, s31
	s_cselect_b32 s31, s36, s34
	s_cmp_lg_u64 s[28:29], 0
	s_subb_u32 s27, s27, s33
	s_cmp_ge_u32 s27, s9
	s_cselect_b32 s28, -1, 0
	s_cmp_ge_u32 s26, s8
	s_cselect_b32 s8, -1, 0
	s_cmp_eq_u32 s27, s9
	s_cselect_b32 s8, s8, s28
	s_cmp_lg_u32 s8, 0
	s_cselect_b32 s9, s31, s23
	s_cselect_b32 s8, s30, s1
	s_xor_b64 s[20:21], s[20:21], 0
	s_xor_b64 s[8:9], s[8:9], s[20:21]
	s_sub_u32 s20, s8, s20
	s_cbranch_execnz .LBB18_11
.LBB18_10:
	s_sub_i32 s1, 0, s5
	v_readfirstlane_b32 s8, v7
	s_mul_i32 s1, s1, s8
	s_mul_hi_u32 s1, s8, s1
	s_add_i32 s8, s8, s1
	s_mul_hi_u32 s1, s22, s8
	s_mul_i32 s9, s1, s5
	s_sub_i32 s9, s22, s9
	s_add_i32 s8, s1, 1
	s_sub_i32 s20, s9, s5
	s_cmp_ge_u32 s9, s5
	s_cselect_b32 s1, s8, s1
	s_cselect_b32 s9, s20, s9
	s_add_i32 s8, s1, 1
	s_cmp_ge_u32 s9, s5
	s_cselect_b32 s20, s8, s1
.LBB18_11:
	s_cmp_lg_u32 s6, s20
	s_cbranch_scc0 .LBB18_15
; %bb.12:
	s_add_i32 s21, s25, s3
	s_add_i32 s1, s21, s5
	s_lshl_b32 s1, s1, 3
	s_add_i32 s8, s1, s4
	s_mov_b32 s9, s0
	s_lshl_b64 s[8:9], s[8:9], 3
	s_add_u32 s22, s18, s8
	s_mul_hi_u32 s1, s20, s12
	s_addc_u32 s23, s19, s9
	s_add_i32 s1, s1, s20
	s_lshr_b32 s1, s1, s13
	s_mul_i32 s8, s1, s14
	s_cmp_eq_u32 s8, s20
	s_cselect_b64 s[8:9], -1, 0
	s_cmp_lt_u32 s1, s7
	s_cselect_b64 s[26:27], -1, 0
	s_or_b64 s[26:27], s[26:27], s[8:9]
	s_mov_b64 s[8:9], -1
	s_and_b64 vcc, exec, s[26:27]
	s_mov_b32 s1, s25
	s_mov_b32 s26, s6
	s_cbranch_vccnz .LBB18_14
; %bb.13:
	s_add_i32 s1, s25, -1
	s_mov_b64 s[8:9], 0
	s_mov_b32 s26, s20
.LBB18_14:
	v_lshl_add_u32 v4, s21, 10, v6
	v_ashrrev_i32_e32 v5, 31, v4
	v_lshl_add_u64 v[4:5], v[4:5], 2, s[16:17]
	global_load_dword v5, v[4:5], off
	s_load_dwordx2 s[20:21], s[22:23], 0x0
	v_max_f32_e32 v4, v9, v9
	s_waitcnt lgkmcnt(0)
	v_max_f32_e64 v10, s20, s20
	v_max_f32_e32 v10, v4, v10
	v_sub_f32_e32 v11, v9, v10
	v_sub_f32_e32 v13, s20, v10
	v_mul_f32_e32 v4, 0x3fb8aa3b, v11
	v_mul_f32_e32 v12, 0x3fb8aa3b, v13
	v_fma_f32 v14, v11, s2, -v4
	v_rndne_f32_e32 v15, v4
	v_fma_f32 v16, v13, s2, -v12
	v_rndne_f32_e32 v17, v12
	v_fmac_f32_e32 v14, 0x32a5705f, v11
	v_sub_f32_e32 v4, v4, v15
	v_fmac_f32_e32 v16, 0x32a5705f, v13
	v_sub_f32_e32 v12, v12, v17
	v_add_f32_e32 v4, v4, v14
	v_cvt_i32_f32_e32 v15, v15
	v_add_f32_e32 v12, v12, v16
	v_exp_f32_e32 v14, v4
	v_cvt_i32_f32_e32 v17, v17
	v_exp_f32_e32 v12, v12
	v_cmp_ngt_f32_e32 vcc, s10, v11
	v_ldexp_f32 v14, v14, v15
	v_mov_b32_e32 v4, s21
	v_ldexp_f32 v12, v12, v17
	v_cndmask_b32_e32 v14, 0, v14, vcc
	v_cmp_ngt_f32_e32 vcc, s10, v13
	s_nop 1
	v_cndmask_b32_e32 v12, 0, v12, vcc
	v_cmp_nlt_f32_e32 vcc, s15, v11
	s_nop 1
	v_cndmask_b32_e32 v14, v8, v14, vcc
	v_cmp_nlt_f32_e32 vcc, s15, v13
	s_nop 1
	v_cndmask_b32_e32 v15, v8, v12, vcc
	v_cmp_le_f32_e32 vcc, s24, v11
	s_nop 1
	v_cndmask_b32_e32 v12, 0, v14, vcc
	v_cmp_le_f32_e32 vcc, s24, v13
	s_nop 1
	v_cndmask_b32_e32 v14, 0, v15, vcc
	s_waitcnt vmcnt(0)
	v_pk_mul_f32 v[4:5], v[4:5], v[14:15] op_sel_hi:[1,0]
	s_nop 0
	v_pk_fma_f32 v[4:5], v[0:1], v[12:13], v[4:5] op_sel_hi:[1,0,1]
	s_cbranch_execz .LBB18_16
	s_branch .LBB18_17
.LBB18_15:
                                        ; implicit-def: $vgpr4_vgpr5
                                        ; implicit-def: $sgpr8_sgpr9
                                        ; implicit-def: $vgpr10
                                        ; implicit-def: $sgpr1
                                        ; implicit-def: $sgpr26
.LBB18_16:
	s_add_i32 s1, s25, -1
	s_mov_b64 s[8:9], 0
	s_mov_b32 s26, s6
	v_mov_b32_e32 v10, v9
	s_waitcnt vmcnt(0)
	v_mov_b64_e32 v[4:5], v[0:1]
.LBB18_17:
	s_andn2_b64 vcc, exec, s[8:9]
	s_cbranch_vccz .LBB18_22
; %bb.18:
	s_mov_b32 s6, s26
	s_mov_b32 s25, s1
	v_mov_b32_e32 v9, v10
	s_waitcnt vmcnt(0)
	v_mov_b64_e32 v[0:1], v[4:5]
	s_mul_hi_i32 s1, s25, s11
	s_cmp_lg_u64 s[0:1], 0
	s_mul_i32 s22, s25, s11
	s_cbranch_scc1 .LBB18_9
.LBB18_19:
                                        ; implicit-def: $sgpr20_sgpr21
	s_branch .LBB18_10
.LBB18_20:
                                        ; implicit-def: $sgpr6_sgpr7
	s_load_dwordx4 s[12:15], s[0:1], 0x44
	s_branch .LBB18_2
.LBB18_21:
                                        ; implicit-def: $sgpr18_sgpr19
	s_branch .LBB18_5
.LBB18_22:
	v_div_scale_f32 v0, s[0:1], v4, v4, v5
	s_waitcnt vmcnt(0)
	v_rcp_f32_e32 v1, v0
	v_div_scale_f32 v6, vcc, v5, v4, v5
	v_fma_f32 v7, -v0, v1, 1.0
	v_fmac_f32_e32 v1, v7, v1
	v_mul_f32_e32 v7, v6, v1
	v_fma_f32 v8, -v0, v7, v6
	v_fmac_f32_e32 v7, v8, v1
	v_fma_f32 v0, -v0, v7, v6
	v_div_fmas_f32 v0, v0, v1, v7
	v_div_fixup_f32 v0, v0, v4, v5
	global_store_dword v[2:3], v0, off
.LBB18_23:
	s_endpgm
	.section	.rodata,"a",@progbits
	.p2align	6, 0x0
	.amdhsa_kernel _ZL33flash_attn_stream_k_fixup_generalILi128ELi1ELi8EEvPfPK15HIP_vector_typeIfLj2EEiiiiS1_IjLj3EES5_S5_S5_
		.amdhsa_group_segment_fixed_size 0
		.amdhsa_private_segment_fixed_size 0
		.amdhsa_kernarg_size 336
		.amdhsa_user_sgpr_count 2
		.amdhsa_user_sgpr_dispatch_ptr 0
		.amdhsa_user_sgpr_queue_ptr 0
		.amdhsa_user_sgpr_kernarg_segment_ptr 1
		.amdhsa_user_sgpr_dispatch_id 0
		.amdhsa_user_sgpr_kernarg_preload_length 0
		.amdhsa_user_sgpr_kernarg_preload_offset 0
		.amdhsa_user_sgpr_private_segment_size 0
		.amdhsa_uses_dynamic_stack 0
		.amdhsa_enable_private_segment 0
		.amdhsa_system_sgpr_workgroup_id_x 1
		.amdhsa_system_sgpr_workgroup_id_y 1
		.amdhsa_system_sgpr_workgroup_id_z 1
		.amdhsa_system_sgpr_workgroup_info 0
		.amdhsa_system_vgpr_workitem_id 0
		.amdhsa_next_free_vgpr 18
		.amdhsa_next_free_sgpr 37
		.amdhsa_accum_offset 20
		.amdhsa_reserve_vcc 1
		.amdhsa_float_round_mode_32 0
		.amdhsa_float_round_mode_16_64 0
		.amdhsa_float_denorm_mode_32 3
		.amdhsa_float_denorm_mode_16_64 3
		.amdhsa_dx10_clamp 1
		.amdhsa_ieee_mode 1
		.amdhsa_fp16_overflow 0
		.amdhsa_tg_split 0
		.amdhsa_exception_fp_ieee_invalid_op 0
		.amdhsa_exception_fp_denorm_src 0
		.amdhsa_exception_fp_ieee_div_zero 0
		.amdhsa_exception_fp_ieee_overflow 0
		.amdhsa_exception_fp_ieee_underflow 0
		.amdhsa_exception_fp_ieee_inexact 0
		.amdhsa_exception_int_div_zero 0
	.end_amdhsa_kernel
	.section	.text._ZL33flash_attn_stream_k_fixup_generalILi128ELi1ELi8EEvPfPK15HIP_vector_typeIfLj2EEiiiiS1_IjLj3EES5_S5_S5_,"axG",@progbits,_ZL33flash_attn_stream_k_fixup_generalILi128ELi1ELi8EEvPfPK15HIP_vector_typeIfLj2EEiiiiS1_IjLj3EES5_S5_S5_,comdat
.Lfunc_end18:
	.size	_ZL33flash_attn_stream_k_fixup_generalILi128ELi1ELi8EEvPfPK15HIP_vector_typeIfLj2EEiiiiS1_IjLj3EES5_S5_S5_, .Lfunc_end18-_ZL33flash_attn_stream_k_fixup_generalILi128ELi1ELi8EEvPfPK15HIP_vector_typeIfLj2EEiiiiS1_IjLj3EES5_S5_S5_
                                        ; -- End function
	.set _ZL33flash_attn_stream_k_fixup_generalILi128ELi1ELi8EEvPfPK15HIP_vector_typeIfLj2EEiiiiS1_IjLj3EES5_S5_S5_.num_vgpr, 18
	.set _ZL33flash_attn_stream_k_fixup_generalILi128ELi1ELi8EEvPfPK15HIP_vector_typeIfLj2EEiiiiS1_IjLj3EES5_S5_S5_.num_agpr, 0
	.set _ZL33flash_attn_stream_k_fixup_generalILi128ELi1ELi8EEvPfPK15HIP_vector_typeIfLj2EEiiiiS1_IjLj3EES5_S5_S5_.numbered_sgpr, 37
	.set _ZL33flash_attn_stream_k_fixup_generalILi128ELi1ELi8EEvPfPK15HIP_vector_typeIfLj2EEiiiiS1_IjLj3EES5_S5_S5_.num_named_barrier, 0
	.set _ZL33flash_attn_stream_k_fixup_generalILi128ELi1ELi8EEvPfPK15HIP_vector_typeIfLj2EEiiiiS1_IjLj3EES5_S5_S5_.private_seg_size, 0
	.set _ZL33flash_attn_stream_k_fixup_generalILi128ELi1ELi8EEvPfPK15HIP_vector_typeIfLj2EEiiiiS1_IjLj3EES5_S5_S5_.uses_vcc, 1
	.set _ZL33flash_attn_stream_k_fixup_generalILi128ELi1ELi8EEvPfPK15HIP_vector_typeIfLj2EEiiiiS1_IjLj3EES5_S5_S5_.uses_flat_scratch, 0
	.set _ZL33flash_attn_stream_k_fixup_generalILi128ELi1ELi8EEvPfPK15HIP_vector_typeIfLj2EEiiiiS1_IjLj3EES5_S5_S5_.has_dyn_sized_stack, 0
	.set _ZL33flash_attn_stream_k_fixup_generalILi128ELi1ELi8EEvPfPK15HIP_vector_typeIfLj2EEiiiiS1_IjLj3EES5_S5_S5_.has_recursion, 0
	.set _ZL33flash_attn_stream_k_fixup_generalILi128ELi1ELi8EEvPfPK15HIP_vector_typeIfLj2EEiiiiS1_IjLj3EES5_S5_S5_.has_indirect_call, 0
	.section	.AMDGPU.csdata,"",@progbits
; Kernel info:
; codeLenInByte = 2924
; TotalNumSgprs: 43
; NumVgprs: 18
; NumAgprs: 0
; TotalNumVgprs: 18
; ScratchSize: 0
; MemoryBound: 0
; FloatMode: 240
; IeeeMode: 1
; LDSByteSize: 0 bytes/workgroup (compile time only)
; SGPRBlocks: 5
; VGPRBlocks: 2
; NumSGPRsForWavesPerEU: 43
; NumVGPRsForWavesPerEU: 18
; AccumOffset: 20
; Occupancy: 8
; WaveLimiterHint : 0
; COMPUTE_PGM_RSRC2:SCRATCH_EN: 0
; COMPUTE_PGM_RSRC2:USER_SGPR: 2
; COMPUTE_PGM_RSRC2:TRAP_HANDLER: 0
; COMPUTE_PGM_RSRC2:TGID_X_EN: 1
; COMPUTE_PGM_RSRC2:TGID_Y_EN: 1
; COMPUTE_PGM_RSRC2:TGID_Z_EN: 1
; COMPUTE_PGM_RSRC2:TIDIG_COMP_CNT: 0
; COMPUTE_PGM_RSRC3_GFX90A:ACCUM_OFFSET: 4
; COMPUTE_PGM_RSRC3_GFX90A:TG_SPLIT: 0
	.section	.text._ZL15flash_attn_tileILi192ELi128ELi2ELi16ELb1EEvPKcS1_S1_S1_S1_PKiPfP15HIP_vector_typeIfLj2EEffffjfiS5_IjLj3EEiiiiiiiiiiiliiliiiiil,"axG",@progbits,_ZL15flash_attn_tileILi192ELi128ELi2ELi16ELb1EEvPKcS1_S1_S1_S1_PKiPfP15HIP_vector_typeIfLj2EEffffjfiS5_IjLj3EEiiiiiiiiiiiliiliiiiil,comdat
	.globl	_ZL15flash_attn_tileILi192ELi128ELi2ELi16ELb1EEvPKcS1_S1_S1_S1_PKiPfP15HIP_vector_typeIfLj2EEffffjfiS5_IjLj3EEiiiiiiiiiiiliiliiiiil ; -- Begin function _ZL15flash_attn_tileILi192ELi128ELi2ELi16ELb1EEvPKcS1_S1_S1_S1_PKiPfP15HIP_vector_typeIfLj2EEffffjfiS5_IjLj3EEiiiiiiiiiiiliiliiiiil
	.p2align	8
	.type	_ZL15flash_attn_tileILi192ELi128ELi2ELi16ELb1EEvPKcS1_S1_S1_S1_PKiPfP15HIP_vector_typeIfLj2EEffffjfiS5_IjLj3EEiiiiiiiiiiiliiliiiiil,@function
_ZL15flash_attn_tileILi192ELi128ELi2ELi16ELb1EEvPKcS1_S1_S1_S1_PKiPfP15HIP_vector_typeIfLj2EEffffjfiS5_IjLj3EEiiiiiiiiiiiliiliiiiil: ; @_ZL15flash_attn_tileILi192ELi128ELi2ELi16ELb1EEvPKcS1_S1_S1_S1_PKiPfP15HIP_vector_typeIfLj2EEffffjfiS5_IjLj3EEiiiiiiiiiiiliiliiiiil
; %bb.0:
	s_load_dwordx4 s[20:23], s[0:1], 0x5c
	s_load_dwordx2 s[28:29], s[0:1], 0x80
	s_load_dwordx2 s[34:35], s[0:1], 0xb8
	s_mov_b64 s[30:31], 0
	s_waitcnt lgkmcnt(0)
	s_ashr_i32 s5, s23, 31
	s_lshr_b32 s5, s5, 28
	s_add_i32 s5, s23, s5
	s_ashr_i32 s5, s5, 4
	v_cvt_f32_u32_e32 v1, s5
	s_sub_i32 s6, 0, s5
	v_rcp_iflag_f32_e32 v1, v1
	s_nop 0
	v_mul_f32_e32 v1, 0x4f7ffffe, v1
	v_cvt_u32_f32_e32 v1, v1
	s_nop 0
	v_readfirstlane_b32 s7, v1
	s_mul_i32 s6, s6, s7
	s_mul_hi_u32 s6, s7, s6
	s_add_i32 s7, s7, s6
	s_mul_hi_u32 s6, s4, s7
	s_mul_i32 s7, s6, s5
	s_sub_i32 s7, s4, s7
	s_add_i32 s8, s6, 1
	s_sub_i32 s9, s7, s5
	s_cmp_ge_u32 s7, s5
	s_cselect_b32 s6, s8, s6
	s_cselect_b32 s7, s9, s7
	s_add_i32 s8, s6, 1
	s_cmp_ge_u32 s7, s5
	s_cselect_b32 s33, s8, s6
	s_abs_i32 s5, s29
	v_cvt_f32_u32_e32 v1, s5
	s_lshl_b32 s4, s4, 4
	s_mul_i32 s8, s33, s23
	s_xor_b32 s6, s23, s29
	v_rcp_iflag_f32_e32 v1, v1
	s_sub_i32 s9, 0, s5
	s_sub_i32 s29, s4, s8
	s_abs_i32 s7, s23
	v_mul_f32_e32 v1, 0x4f7ffffe, v1
	v_cvt_u32_f32_e32 v1, v1
	s_ashr_i32 s6, s6, 31
	v_readfirstlane_b32 s4, v1
	s_mul_i32 s9, s9, s4
	s_mul_hi_u32 s8, s4, s9
	s_add_i32 s4, s4, s8
	s_mul_hi_u32 s4, s7, s4
	s_mul_i32 s8, s4, s5
	s_sub_i32 s7, s7, s8
	s_add_i32 s9, s4, 1
	s_sub_i32 s8, s7, s5
	s_cmp_ge_u32 s7, s5
	s_cselect_b32 s4, s9, s4
	s_cselect_b32 s7, s8, s7
	s_add_i32 s8, s4, 1
	s_cmp_ge_u32 s7, s5
	s_cselect_b32 s4, s8, s4
	s_xor_b32 s4, s4, s6
	s_sub_i32 s37, s4, s6
	s_abs_i32 s36, s37
	v_cvt_f32_u32_e32 v1, s36
	s_load_dwordx16 s[4:19], s[0:1], 0x0
	v_rcp_iflag_f32_e32 v1, v1
	s_waitcnt lgkmcnt(0)
	s_cmp_eq_u64 s[10:11], 0
	v_mul_f32_e32 v1, 0x4f7ffffe, v1
	v_cvt_u32_f32_e32 v1, v1
	s_nop 0
	v_readfirstlane_b32 s24, v1
	s_cbranch_scc1 .LBB19_2
; %bb.1:
	s_abs_i32 s25, s34
	v_cvt_f32_u32_e32 v1, s25
	s_sub_i32 s34, 0, s25
	s_abs_i32 s31, s33
	s_ashr_i32 s30, s33, 31
	v_rcp_iflag_f32_e32 v1, v1
	s_load_dwordx2 s[26:27], s[0:1], 0xc8
	v_mul_f32_e32 v1, 0x4f7ffffe, v1
	v_cvt_u32_f32_e32 v1, v1
	s_nop 0
	v_readfirstlane_b32 s38, v1
	s_mul_i32 s34, s34, s38
	s_mul_hi_u32 s34, s38, s34
	s_add_i32 s38, s38, s34
	s_mul_hi_u32 s34, s31, s38
	s_mul_i32 s34, s34, s25
	s_sub_i32 s31, s31, s34
	s_sub_i32 s34, s31, s25
	s_cmp_ge_u32 s31, s25
	s_cselect_b32 s31, s34, s31
	s_sub_i32 s34, s31, s25
	s_cmp_ge_u32 s31, s25
	s_cselect_b32 s25, s34, s31
	s_xor_b32 s25, s25, s30
	s_sub_i32 s25, s25, s30
	s_ashr_i32 s30, s25, 31
	s_waitcnt lgkmcnt(0)
	s_mul_hi_u32 s31, s26, s25
	s_mul_i32 s30, s26, s30
	s_mul_i32 s27, s27, s25
	s_add_i32 s30, s31, s30
	s_add_i32 s27, s30, s27
	s_mul_i32 s25, s26, s25
	s_add_u32 s30, s10, s25
	s_addc_u32 s31, s11, s27
.LBB19_2:
	s_load_dwordx4 s[40:43], s[0:1], 0x70
	v_lshrrev_b32_e32 v1, 10, v0
	v_bfe_u32 v1, v1, 2, 8
	v_lshl_add_u32 v5, s2, 1, v1
	v_bfe_u32 v8, v0, 10, 10
	s_waitcnt lgkmcnt(0)
	s_mul_i32 s10, s33, s42
	s_ashr_i32 s25, s10, 31
	s_mul_i32 s11, s29, s41
	s_add_u32 s4, s4, s10
	v_and_b32_e32 v4, 0x3ff, v0
	v_mul_hi_u32 v0, s20, v5
	s_addc_u32 s5, s5, s25
	s_ashr_i32 s10, s11, 31
	v_add_u32_e32 v0, v5, v0
	s_add_u32 s4, s4, s11
	v_lshrrev_b32_e32 v0, s21, v0
	s_addc_u32 s5, s5, s10
	s_ashr_i32 s27, s41, 31
	s_mov_b32 s26, s41
	v_mul_lo_u32 v0, v0, s22
	s_ashr_i32 s41, s40, 31
	v_sub_u32_e32 v9, v5, v0
	s_lshr_b64 s[20:21], s[40:41], 2
	v_mad_u64_u32 v[0:1], s[20:21], s20, v9, 0
	v_mov_b32_e32 v2, v1
	s_lshr_b32 s20, s41, 2
	v_mad_u64_u32 v[2:3], s[20:21], s20, v9, v[2:3]
	v_lshlrev_b32_e32 v7, 2, v8
	v_mov_b32_e32 v1, v2
	s_lshr_b64 s[10:11], s[26:27], 2
	v_lshl_add_u64 v[0:1], v[0:1], 2, s[4:5]
	v_lshlrev_b32_e32 v2, 4, v4
	v_mov_b32_e32 v3, 0
	v_and_b32_e32 v18, 12, v7
	v_lshl_add_u64 v[0:1], v[0:1], 0, v[2:3]
	v_mad_u64_u32 v[2:3], s[4:5], s10, v18, 0
	v_mad_i32_i24 v3, s27, v18, v3
	v_lshl_add_u64 v[2:3], v[2:3], 2, v[0:1]
	global_load_dwordx4 v[10:13], v[2:3], off
	s_load_dword s4, s[0:1], 0x40
	s_movk_i32 s5, 0x600
	v_lshlrev_b32_e32 v20, 3, v4
	v_mad_u32_u24 v6, v8, s5, v20
	v_mul_u32_u24_e32 v21, 0x600, v8
	s_waitcnt lgkmcnt(0)
	s_mov_b32 s5, s4
	v_cmp_gt_u32_e32 vcc, 16, v4
	s_waitcnt vmcnt(0)
	v_fma_mixlo_f16 v14, s4, v10, 0
	v_mov_b32_e32 v10, v13
	v_pk_mul_f32 v[10:11], s[4:5], v[10:11] op_sel_hi:[0,1]
	v_cvt_pk_f16_f32 v10, v10, v11
	v_fma_mixlo_f16 v12, s4, v12, 0
	v_and_b32_e32 v13, 0xffff, v14
	v_lshlrev_b32_e32 v11, 16, v10
	v_and_b32_e32 v10, 0xffff0000, v10
	v_and_b32_e32 v12, 0xffff, v12
	v_or_b32_e32 v10, v10, v13
	v_or3_b32 v11, v11, v12, 0
	v_or3_b32 v10, 0, 0, v10
	ds_write_b64 v6, v[10:11]
	s_and_saveexec_b64 s[20:21], vcc
	s_cbranch_execz .LBB19_4
; %bb.3:
	global_load_dwordx4 v[10:13], v[2:3], off offset:512
	s_waitcnt vmcnt(0)
	v_fma_mixlo_f16 v2, s4, v10, 0
	v_fma_mixlo_f16 v3, s4, v12, 0
	v_mov_b32_e32 v10, v13
	v_and_b32_e32 v6, 0xffff, v2
	v_and_b32_e32 v12, 0xffff, v3
	v_pk_mul_f32 v[2:3], s[4:5], v[10:11]
	s_nop 0
	v_cvt_pk_f16_f32 v2, v2, v3
	v_lshlrev_b32_e32 v3, 16, v2
	v_and_b32_e32 v2, 0xffff0000, v2
	v_or_b32_e32 v2, v2, v6
	v_or3_b32 v3, v3, v12, 0
	v_or3_b32 v2, 0, 0, v2
	v_add_u32_e32 v6, v20, v21
	ds_write_b64 v6, v[2:3] offset:256
.LBB19_4:
	s_or_b64 exec, exec, s[20:21]
	v_bitop3_b32 v10, v7, 13, 1 bitop3:0xc8
	v_mad_u64_u32 v[2:3], s[20:21], s10, v10, 0
	v_mov_b32_e32 v6, v3
	v_mad_u64_u32 v[10:11], s[20:21], s11, v10, v[6:7]
	v_mov_b32_e32 v3, v10
	v_lshl_add_u64 v[2:3], v[2:3], 2, v[0:1]
	global_load_dwordx4 v[10:13], v[2:3], off
	v_or_b32_e32 v6, 1, v7
	s_movk_i32 s20, 0x180
	v_mul_u32_u24_e32 v14, 0x180, v6
	v_mad_u32_u24 v6, v6, s20, v20
	s_waitcnt vmcnt(0)
	v_fma_mixlo_f16 v15, s4, v10, 0
	v_mov_b32_e32 v10, v13
	v_pk_mul_f32 v[10:11], s[4:5], v[10:11]
	v_fma_mixlo_f16 v12, s4, v12, 0
	v_cvt_pk_f16_f32 v10, v10, v11
	v_and_b32_e32 v13, 0xffff, v15
	v_lshlrev_b32_e32 v11, 16, v10
	v_and_b32_e32 v10, 0xffff0000, v10
	v_and_b32_e32 v12, 0xffff, v12
	v_or_b32_e32 v10, v10, v13
	v_or3_b32 v11, v11, v12, 0
	v_or3_b32 v10, 0, 0, v10
	ds_write_b64 v6, v[10:11]
	v_add_u32_e32 v6, v20, v14
	s_and_saveexec_b64 s[20:21], vcc
	s_cbranch_execz .LBB19_6
; %bb.5:
	global_load_dwordx4 v[10:13], v[2:3], off offset:512
	s_waitcnt vmcnt(0)
	v_fma_mixlo_f16 v2, s4, v10, 0
	v_fma_mixlo_f16 v3, s4, v12, 0
	v_mov_b32_e32 v10, v13
	v_and_b32_e32 v12, 0xffff, v2
	v_and_b32_e32 v13, 0xffff, v3
	v_pk_mul_f32 v[2:3], s[4:5], v[10:11]
	s_nop 0
	v_cvt_pk_f16_f32 v2, v2, v3
	v_lshlrev_b32_e32 v3, 16, v2
	v_and_b32_e32 v2, 0xffff0000, v2
	v_or_b32_e32 v2, v2, v12
	v_or3_b32 v3, v3, v13, 0
	v_or3_b32 v2, 0, 0, v2
	ds_write_b64 v6, v[2:3] offset:256
.LBB19_6:
	s_or_b64 exec, exec, s[20:21]
	v_bitop3_b32 v11, v7, 14, 2 bitop3:0xc8
	v_mad_u64_u32 v[2:3], s[20:21], s10, v11, 0
	v_mov_b32_e32 v10, v3
	v_mad_u64_u32 v[10:11], s[20:21], s11, v11, v[10:11]
	v_mov_b32_e32 v3, v10
	v_lshl_add_u64 v[2:3], v[2:3], 2, v[0:1]
	global_load_dwordx4 v[10:13], v[2:3], off
	s_waitcnt vmcnt(0)
	v_fma_mixlo_f16 v14, s4, v10, 0
	v_mov_b32_e32 v10, v13
	v_pk_mul_f32 v[10:11], s[4:5], v[10:11]
	v_fma_mixlo_f16 v12, s4, v12, 0
	v_cvt_pk_f16_f32 v10, v10, v11
	v_and_b32_e32 v13, 0xffff, v14
	v_lshlrev_b32_e32 v11, 16, v10
	v_and_b32_e32 v10, 0xffff0000, v10
	v_and_b32_e32 v12, 0xffff, v12
	v_or_b32_e32 v10, v10, v13
	v_or3_b32 v11, v11, v12, 0
	v_or3_b32 v10, 0, 0, v10
	ds_write_b64 v6, v[10:11] offset:384
	s_and_saveexec_b64 s[20:21], vcc
	s_cbranch_execz .LBB19_8
; %bb.7:
	global_load_dwordx4 v[10:13], v[2:3], off offset:512
	s_waitcnt vmcnt(0)
	v_fma_mixlo_f16 v2, s4, v10, 0
	v_fma_mixlo_f16 v3, s4, v12, 0
	v_mov_b32_e32 v10, v13
	v_and_b32_e32 v12, 0xffff, v2
	v_and_b32_e32 v13, 0xffff, v3
	v_pk_mul_f32 v[2:3], s[4:5], v[10:11]
	s_nop 0
	v_cvt_pk_f16_f32 v2, v2, v3
	v_lshlrev_b32_e32 v3, 16, v2
	v_and_b32_e32 v2, 0xffff0000, v2
	v_or_b32_e32 v2, v2, v12
	v_or3_b32 v3, v3, v13, 0
	v_or3_b32 v2, 0, 0, v2
	ds_write_b64 v6, v[2:3] offset:640
.LBB19_8:
	s_or_b64 exec, exec, s[20:21]
	v_bitop3_b32 v11, v7, 15, 3 bitop3:0xc8
	v_mad_u64_u32 v[2:3], s[20:21], s10, v11, 0
	v_mov_b32_e32 v10, v3
	v_mad_u64_u32 v[10:11], s[10:11], s11, v11, v[10:11]
	v_mov_b32_e32 v3, v10
	v_lshl_add_u64 v[0:1], v[2:3], 2, v[0:1]
	global_load_dwordx4 v[10:13], v[0:1], off
	s_waitcnt vmcnt(0)
	v_fma_mixlo_f16 v2, s4, v10, 0
	v_fma_mixlo_f16 v3, s4, v12, 0
	v_mov_b32_e32 v10, v13
	v_and_b32_e32 v12, 0xffff, v2
	v_and_b32_e32 v13, 0xffff, v3
	v_pk_mul_f32 v[2:3], s[4:5], v[10:11]
	s_nop 0
	v_cvt_pk_f16_f32 v2, v2, v3
	v_lshlrev_b32_e32 v3, 16, v2
	v_and_b32_e32 v2, 0xffff0000, v2
	v_or_b32_e32 v2, v2, v12
	v_or3_b32 v3, v3, v13, 0
	v_or3_b32 v2, 0, 0, v2
	ds_write_b64 v6, v[2:3] offset:768
	s_and_saveexec_b64 s[10:11], vcc
	s_cbranch_execz .LBB19_10
; %bb.9:
	global_load_dwordx4 v[0:3], v[0:1], off offset:512
	s_waitcnt vmcnt(0)
	v_fma_mixlo_f16 v10, s4, v0, 0
	v_mov_b32_e32 v0, v3
	v_pk_mul_f32 v[0:1], s[4:5], v[0:1]
	v_fma_mixlo_f16 v2, s4, v2, 0
	v_cvt_pk_f16_f32 v0, v0, v1
	v_and_b32_e32 v3, 0xffff, v10
	v_lshlrev_b32_e32 v1, 16, v0
	v_and_b32_e32 v0, 0xffff0000, v0
	v_and_b32_e32 v2, 0xffff, v2
	v_or_b32_e32 v0, v0, v3
	v_or3_b32 v1, v1, v2, 0
	v_or3_b32 v0, 0, 0, v0
	ds_write_b64 v6, v[0:1] offset:1024
.LBB19_10:
	s_or_b64 exec, exec, s[10:11]
	s_cmp_eq_u64 s[14:15], 0
	s_waitcnt lgkmcnt(0)
	s_barrier
	s_cbranch_scc1 .LBB19_12
; %bb.11:
	s_load_dword s4, s[0:1], 0xd0
	s_mov_b32 s5, 0
	s_waitcnt lgkmcnt(0)
	s_mul_i32 s4, s4, s33
	s_add_i32 s4, s4, s2
	s_lshl_b64 s[4:5], s[4:5], 2
	s_add_u32 s4, s14, s4
	s_addc_u32 s5, s15, s5
	s_load_dword s28, s[4:5], 0x0
.LBB19_12:
	s_lshl_b32 s2, s3, 5
	s_waitcnt lgkmcnt(0)
	s_cmp_lt_i32 s2, s28
	v_mbcnt_lo_u32_b32 v0, -1, 0
	s_cbranch_scc1 .LBB19_35
; %bb.13:
	v_mbcnt_hi_u32_b32 v6, -1, v0
	v_and_b32_e32 v1, 0x60, v6
	v_add_u32_e32 v40, 32, v1
	v_xor_b32_e32 v41, 16, v6
	v_xor_b32_e32 v43, 8, v6
	;; [unrolled: 1-line block ×5, first 2 shown]
	v_lshlrev_b32_e32 v19, 2, v4
	s_cbranch_execz .LBB19_36
; %bb.14:
	v_mov_b32_e32 v9, 0
	v_mov_b32_e32 v31, 0
	;; [unrolled: 1-line block ×16, first 2 shown]
.LBB19_15:
	v_cmp_lt_i32_e32 vcc, v41, v40
	s_cmp_lg_u64 s[12:13], 0
	s_cselect_b64 s[4:5], -1, 0
	v_cndmask_b32_e32 v12, v6, v41, vcc
	v_cmp_lt_i32_e32 vcc, v43, v40
	v_lshlrev_b32_e32 v14, 2, v12
	ds_bpermute_b32 v13, v14, v11
	v_cndmask_b32_e32 v12, v6, v43, vcc
	v_cmp_lt_i32_e32 vcc, v44, v40
	v_lshlrev_b32_e32 v20, 2, v12
	ds_bpermute_b32 v16, v14, v8
	v_cndmask_b32_e32 v12, v6, v44, vcc
	v_lshlrev_b32_e32 v21, 2, v12
	ds_bpermute_b32 v12, v14, v10
	ds_bpermute_b32 v17, v14, v9
	v_cmp_lt_i32_e32 vcc, v42, v40
	s_cmp_eq_u32 s3, 0
	s_cselect_b64 s[6:7], -1, 0
	s_waitcnt lgkmcnt(1)
	v_pk_add_f32 v[10:11], v[10:11], v[12:13]
	s_waitcnt lgkmcnt(0)
	v_pk_add_f32 v[8:9], v[8:9], v[16:17]
	ds_bpermute_b32 v12, v20, v10
	ds_bpermute_b32 v13, v20, v11
	;; [unrolled: 1-line block ×4, first 2 shown]
	v_cndmask_b32_e32 v14, v6, v42, vcc
	v_lshlrev_b32_e32 v14, 2, v14
	s_waitcnt lgkmcnt(2)
	v_pk_add_f32 v[10:11], v[10:11], v[12:13]
	ds_bpermute_b32 v12, v21, v10
	s_waitcnt lgkmcnt(1)
	v_pk_add_f32 v[8:9], v[8:9], v[16:17]
	ds_bpermute_b32 v13, v21, v11
	ds_bpermute_b32 v16, v21, v8
	;; [unrolled: 1-line block ×3, first 2 shown]
	v_cmp_lt_i32_e32 vcc, v39, v40
	s_and_b64 s[4:5], s[6:7], s[4:5]
	s_waitcnt lgkmcnt(2)
	v_pk_add_f32 v[10:11], v[10:11], v[12:13]
	ds_bpermute_b32 v12, v14, v10
	s_waitcnt lgkmcnt(1)
	v_pk_add_f32 v[8:9], v[8:9], v[16:17]
	ds_bpermute_b32 v13, v14, v11
	ds_bpermute_b32 v16, v14, v8
	;; [unrolled: 1-line block ×3, first 2 shown]
	v_cndmask_b32_e32 v6, v6, v39, vcc
	v_lshlrev_b32_e32 v6, 2, v6
	s_waitcnt lgkmcnt(2)
	v_pk_add_f32 v[10:11], v[10:11], v[12:13]
	ds_bpermute_b32 v12, v6, v10
	s_waitcnt lgkmcnt(1)
	v_pk_add_f32 v[8:9], v[8:9], v[16:17]
	ds_bpermute_b32 v13, v6, v11
	ds_bpermute_b32 v16, v6, v8
	;; [unrolled: 1-line block ×3, first 2 shown]
	s_and_b64 vcc, exec, s[4:5]
	s_waitcnt lgkmcnt(2)
	v_pk_add_f32 v[10:11], v[10:11], v[12:13]
	s_waitcnt lgkmcnt(0)
	v_pk_add_f32 v[8:9], v[8:9], v[16:17]
	s_cbranch_vccz .LBB19_17
; %bb.16:
	v_add_u32_e32 v12, s29, v18
	v_ashrrev_i32_e32 v13, 31, v12
	v_lshl_add_u64 v[12:13], v[12:13], 2, s[12:13]
	global_load_dwordx4 v[34:37], v[12:13], off
	v_max_f32_e32 v6, v0, v0
	v_max_f32_e32 v12, v1, v1
	s_mov_b32 s5, 0x3fb8aa3b
	v_max_f32_e32 v13, v2, v2
	s_mov_b32 s2, 0xc2ce8ed0
	s_mov_b32 s4, 0x42b17218
	v_mov_b32_e32 v14, 0x7f800000
	s_waitcnt vmcnt(0)
	v_max_f32_e32 v16, v34, v34
	v_max_f32_e32 v38, v6, v16
	v_max_f32_e32 v17, v35, v35
	v_sub_f32_e32 v0, v0, v38
	v_max_f32_e32 v39, v12, v17
	v_sub_f32_e32 v6, v34, v38
	v_mul_f32_e32 v12, 0x3fb8aa3b, v0
	v_max_f32_e32 v20, v36, v36
	v_sub_f32_e32 v1, v1, v39
	v_mul_f32_e32 v17, 0x3fb8aa3b, v6
	v_fma_f32 v25, v0, s5, -v12
	v_rndne_f32_e32 v26, v12
	v_max_f32_e32 v40, v13, v20
	v_sub_f32_e32 v13, v35, v39
	v_mul_f32_e32 v20, 0x3fb8aa3b, v1
	v_fma_f32 v28, v6, s5, -v17
	v_rndne_f32_e32 v30, v17
	v_fmac_f32_e32 v25, 0x32a5705f, v0
	v_sub_f32_e32 v12, v12, v26
	v_sub_f32_e32 v2, v2, v40
	v_mul_f32_e32 v21, 0x3fb8aa3b, v13
	v_fma_f32 v34, v1, s5, -v20
	v_rndne_f32_e32 v35, v20
	v_fmac_f32_e32 v28, 0x32a5705f, v6
	v_sub_f32_e32 v17, v17, v30
	v_add_f32_e32 v12, v12, v25
	v_sub_f32_e32 v16, v36, v40
	v_mul_f32_e32 v23, 0x3fb8aa3b, v2
	v_fma_f32 v36, v13, s5, -v21
	v_rndne_f32_e32 v41, v21
	v_cvt_i32_f32_e32 v26, v26
	v_fmac_f32_e32 v34, 0x32a5705f, v1
	v_sub_f32_e32 v20, v20, v35
	v_add_f32_e32 v17, v17, v28
	v_exp_f32_e32 v12, v12
	v_fma_f32 v42, v2, s5, -v23
	v_rndne_f32_e32 v43, v23
	v_cvt_i32_f32_e32 v30, v30
	v_fmac_f32_e32 v36, 0x32a5705f, v13
	v_sub_f32_e32 v21, v21, v41
	v_add_f32_e32 v20, v20, v34
	v_exp_f32_e32 v17, v17
	v_cvt_i32_f32_e32 v35, v35
	v_fmac_f32_e32 v42, 0x32a5705f, v2
	v_sub_f32_e32 v23, v23, v43
	v_add_f32_e32 v21, v21, v36
	v_exp_f32_e32 v20, v20
	v_cvt_i32_f32_e32 v41, v41
	v_add_f32_e32 v23, v23, v42
	v_exp_f32_e32 v21, v21
	v_cvt_i32_f32_e32 v43, v43
	v_exp_f32_e32 v23, v23
	v_ldexp_f32 v12, v12, v26
	v_cmp_ngt_f32_e32 vcc, s2, v0
	v_ldexp_f32 v17, v17, v30
	v_ldexp_f32 v20, v20, v35
	v_cndmask_b32_e32 v12, 0, v12, vcc
	v_cmp_ngt_f32_e32 vcc, s2, v6
	v_ldexp_f32 v21, v21, v41
	v_ldexp_f32 v23, v23, v43
	v_cndmask_b32_e32 v17, 0, v17, vcc
	v_cmp_ngt_f32_e32 vcc, s2, v1
	v_mul_f32_e32 v24, 0x3fb8aa3b, v16
	v_fma_f32 v44, v16, s5, -v24
	v_cndmask_b32_e32 v20, 0, v20, vcc
	v_cmp_ngt_f32_e32 vcc, s2, v13
	v_rndne_f32_e32 v45, v24
	v_fmac_f32_e32 v44, 0x32a5705f, v16
	v_cndmask_b32_e32 v21, 0, v21, vcc
	v_cmp_ngt_f32_e32 vcc, s2, v2
	v_sub_f32_e32 v24, v24, v45
	v_add_f32_e32 v24, v24, v44
	v_cndmask_b32_e32 v23, 0, v23, vcc
	v_cmp_nlt_f32_e32 vcc, s4, v0
	v_cvt_i32_f32_e32 v45, v45
	v_exp_f32_e32 v24, v24
	v_cndmask_b32_e32 v0, v14, v12, vcc
	v_cmp_nlt_f32_e32 vcc, s4, v6
	v_cvt_f16_f32_e32 v6, v0
	v_mul_u32_u24_e32 v6, 0x10001, v6
	v_cndmask_b32_e32 v12, v14, v17, vcc
	v_cmp_nlt_f32_e32 vcc, s4, v1
	v_pk_mul_f16 v31, v31, v6
	v_pk_mul_f16 v33, v33, v6
	v_cndmask_b32_e32 v1, v14, v20, vcc
	v_cvt_f16_f32_e32 v17, v1
	v_max_f32_e32 v20, v3, v3
	v_cmp_nlt_f32_e32 vcc, s4, v13
	v_ldexp_f32 v6, v24, v45
	v_mul_u32_u24_e32 v17, 0x10001, v17
	v_pk_mul_f16 v29, v29, v17
	v_pk_mul_f16 v32, v32, v17
	v_max_f32_e32 v17, v37, v37
	v_max_f32_e32 v41, v20, v17
	v_sub_f32_e32 v3, v3, v41
	v_cndmask_b32_e32 v13, v14, v21, vcc
	v_cmp_nlt_f32_e32 vcc, s4, v2
	v_mul_f32_e32 v17, 0x3fb8aa3b, v3
	v_fma_f32 v20, v3, s5, -v17
	v_cndmask_b32_e32 v2, v14, v23, vcc
	v_cmp_ngt_f32_e32 vcc, s2, v16
	v_rndne_f32_e32 v21, v17
	v_fmac_f32_e32 v20, 0x32a5705f, v3
	v_cndmask_b32_e32 v6, 0, v6, vcc
	v_cmp_nlt_f32_e32 vcc, s4, v16
	v_sub_f32_e32 v17, v17, v21
	v_add_f32_e32 v17, v17, v20
	v_cndmask_b32_e32 v16, v14, v6, vcc
	v_cvt_f16_f32_e32 v6, v2
	v_exp_f32_e32 v17, v17
	v_cvt_i32_f32_e32 v20, v21
	v_cmp_ngt_f32_e32 vcc, s2, v3
	v_mul_u32_u24_e32 v6, 0x10001, v6
	v_pk_mul_f16 v22, v22, v6
	v_pk_mul_f16 v27, v27, v6
	v_ldexp_f32 v6, v17, v20
	v_sub_f32_e32 v17, v37, v41
	v_mul_f32_e32 v20, 0x3fb8aa3b, v17
	v_fma_f32 v21, v17, s5, -v20
	v_rndne_f32_e32 v23, v20
	v_fmac_f32_e32 v21, 0x32a5705f, v17
	v_sub_f32_e32 v20, v20, v23
	v_add_f32_e32 v20, v20, v21
	v_exp_f32_e32 v20, v20
	v_cvt_i32_f32_e32 v21, v23
	v_cndmask_b32_e32 v6, 0, v6, vcc
	v_cmp_nlt_f32_e32 vcc, s4, v3
	v_pk_fma_f32 v[10:11], v[10:11], v[0:1], v[12:13]
	s_nop 0
	v_cndmask_b32_e32 v3, v14, v6, vcc
	v_ldexp_f32 v6, v20, v21
	v_cvt_f16_f32_e32 v20, v3
	v_cmp_ngt_f32_e32 vcc, s2, v17
	s_nop 1
	v_cndmask_b32_e32 v6, 0, v6, vcc
	v_cmp_nlt_f32_e32 vcc, s4, v17
	s_nop 1
	v_cndmask_b32_e32 v17, v14, v6, vcc
	v_mul_u32_u24_e32 v6, 0x10001, v20
	v_pk_fma_f32 v[8:9], v[8:9], v[2:3], v[16:17]
	v_mov_b64_e32 v[0:1], v[38:39]
	v_pk_mul_f16 v15, v15, v6
	v_pk_mul_f16 v7, v7, v6
	v_mov_b64_e32 v[2:3], v[40:41]
.LBB19_17:
	v_cmp_gt_i32_e32 vcc, s22, v5
	s_and_saveexec_b64 s[4:5], vcc
	s_cbranch_execz .LBB19_34
; %bb.18:
	s_load_dword s8, s[0:1], 0xd4
	v_mov_b32_e32 v6, 1.0
	s_waitcnt lgkmcnt(0)
	s_cmp_lg_u32 s8, 1
	s_cselect_b64 s[0:1], -1, 0
	s_cmp_eq_u32 s8, 1
	s_cselect_b64 s[6:7], -1, 0
	s_and_b64 vcc, exec, s[0:1]
	s_cbranch_vccnz .LBB19_20
; %bb.19:
	v_div_scale_f32 v6, s[4:5], v10, v10, 1.0
	v_rcp_f32_e32 v12, v6
	v_div_scale_f32 v13, vcc, 1.0, v10, 1.0
	v_fma_f32 v14, -v6, v12, 1.0
	v_fmac_f32_e32 v12, v14, v12
	v_mul_f32_e32 v14, v13, v12
	v_fma_f32 v16, -v6, v14, v13
	v_fmac_f32_e32 v14, v16, v12
	v_fma_f32 v6, -v6, v14, v13
	v_div_fmas_f32 v6, v6, v12, v14
	v_div_fixup_f32 v6, v6, v10, 1.0
.LBB19_20:
	s_mul_i32 s33, s33, s22
	v_add_u32_e32 v5, s33, v5
	v_mul_lo_u32 v5, v5, s23
	v_add3_u32 v5, s29, v18, v5
	v_cvt_f32_f16_sdwa v17, v31 dst_sel:DWORD dst_unused:UNUSED_PAD src0_sel:WORD_1
	v_cvt_f32_f16_e32 v16, v31
	v_cvt_f32_f16_sdwa v21, v33 dst_sel:DWORD dst_unused:UNUSED_PAD src0_sel:WORD_1
	v_cvt_f32_f16_e32 v20, v33
	v_cmp_eq_u32_e32 vcc, 0, v4
	v_mul_lo_u32 v4, s8, v5
	v_add_u32_e32 v4, s3, v4
	v_lshl_add_u32 v12, v4, 7, v19
	v_mov_b32_e32 v13, 0
	s_and_b64 s[4:5], vcc, s[0:1]
	v_lshl_add_u64 v[12:13], v[12:13], 2, s[16:17]
	v_pk_mul_f32 v[34:35], v[6:7], v[16:17] op_sel_hi:[0,1]
	v_pk_mul_f32 v[36:37], v[6:7], v[20:21] op_sel_hi:[0,1]
	global_store_dwordx4 v[12:13], v[34:37], off
	s_and_saveexec_b64 s[0:1], s[4:5]
	s_cbranch_execz .LBB19_22
; %bb.21:
	v_ashrrev_i32_e32 v5, 31, v4
	v_lshl_add_u64 v[12:13], v[4:5], 3, s[18:19]
	v_mov_b32_e32 v16, v0
	v_mov_b32_e32 v17, v10
	global_store_dwordx2 v[12:13], v[16:17], off
.LBB19_22:
	s_or_b64 exec, exec, s[0:1]
	v_cndmask_b32_e64 v0, 0, 1, s[6:7]
	v_cmp_ne_u32_e64 s[0:1], 1, v0
	s_andn2_b64 vcc, exec, s[6:7]
	v_mov_b32_e32 v0, 1.0
	s_cbranch_vccnz .LBB19_24
; %bb.23:
	v_div_scale_f32 v0, s[2:3], v11, v11, 1.0
	v_rcp_f32_e32 v5, v0
	v_div_scale_f32 v6, vcc, 1.0, v11, 1.0
	v_fma_f32 v10, -v0, v5, 1.0
	v_fmac_f32_e32 v5, v10, v5
	v_mul_f32_e32 v10, v6, v5
	v_fma_f32 v12, -v0, v10, v6
	v_fmac_f32_e32 v10, v12, v5
	v_fma_f32 v0, -v0, v10, v6
	v_div_fmas_f32 v0, v0, v5, v10
	v_div_fixup_f32 v0, v0, v11, 1.0
.LBB19_24:
	v_cvt_f32_f16_sdwa v17, v29 dst_sel:DWORD dst_unused:UNUSED_PAD src0_sel:WORD_1
	v_cvt_f32_f16_e32 v16, v29
	v_cvt_f32_f16_sdwa v21, v32 dst_sel:DWORD dst_unused:UNUSED_PAD src0_sel:WORD_1
	v_cvt_f32_f16_e32 v20, v32
	v_add_u32_e32 v4, s8, v4
	v_lshl_add_u32 v12, v4, 7, v19
	v_mov_b32_e32 v13, 0
	v_lshl_add_u64 v[12:13], v[12:13], 2, s[16:17]
	v_pk_mul_f32 v[28:29], v[0:1], v[16:17] op_sel_hi:[0,1]
	v_pk_mul_f32 v[30:31], v[0:1], v[20:21] op_sel_hi:[0,1]
	global_store_dwordx4 v[12:13], v[28:31], off
	s_and_saveexec_b64 s[2:3], s[4:5]
	s_cbranch_execz .LBB19_26
; %bb.25:
	v_ashrrev_i32_e32 v5, 31, v4
	v_lshl_add_u64 v[12:13], v[4:5], 3, s[18:19]
	v_mov_b32_e32 v10, v1
	global_store_dwordx2 v[12:13], v[10:11], off
.LBB19_26:
	s_or_b64 exec, exec, s[2:3]
	s_and_b64 vcc, exec, s[0:1]
	v_mov_b32_e32 v6, 1.0
	s_cbranch_vccnz .LBB19_28
; %bb.27:
	v_div_scale_f32 v0, s[2:3], v8, v8, 1.0
	v_rcp_f32_e32 v1, v0
	v_div_scale_f32 v5, vcc, 1.0, v8, 1.0
	v_fma_f32 v6, -v0, v1, 1.0
	v_fmac_f32_e32 v1, v6, v1
	v_mul_f32_e32 v6, v5, v1
	v_fma_f32 v10, -v0, v6, v5
	v_fmac_f32_e32 v6, v10, v1
	v_fma_f32 v0, -v0, v6, v5
	v_div_fmas_f32 v0, v0, v1, v6
	v_div_fixup_f32 v6, v0, v8, 1.0
.LBB19_28:
	v_cvt_f32_f16_sdwa v11, v22 dst_sel:DWORD dst_unused:UNUSED_PAD src0_sel:WORD_1
	v_cvt_f32_f16_e32 v10, v22
	v_cvt_f32_f16_sdwa v13, v27 dst_sel:DWORD dst_unused:UNUSED_PAD src0_sel:WORD_1
	v_cvt_f32_f16_e32 v12, v27
	v_add_u32_e32 v0, s8, v4
	v_lshl_add_u32 v4, v0, 7, v19
	v_mov_b32_e32 v5, 0
	v_lshl_add_u64 v[4:5], v[4:5], 2, s[16:17]
	v_pk_mul_f32 v[10:11], v[6:7], v[10:11] op_sel_hi:[0,1]
	v_pk_mul_f32 v[12:13], v[6:7], v[12:13] op_sel_hi:[0,1]
	global_store_dwordx4 v[4:5], v[10:13], off
	s_and_saveexec_b64 s[2:3], s[4:5]
	s_cbranch_execz .LBB19_30
; %bb.29:
	v_ashrrev_i32_e32 v1, 31, v0
	v_lshl_add_u64 v[4:5], v[0:1], 3, s[18:19]
	v_mov_b32_e32 v10, v2
	v_mov_b32_e32 v11, v8
	global_store_dwordx2 v[4:5], v[10:11], off
.LBB19_30:
	s_or_b64 exec, exec, s[2:3]
	s_and_b64 vcc, exec, s[0:1]
	v_mov_b32_e32 v2, 1.0
	s_cbranch_vccnz .LBB19_32
; %bb.31:
	v_div_scale_f32 v1, s[0:1], v9, v9, 1.0
	v_rcp_f32_e32 v2, v1
	v_div_scale_f32 v4, vcc, 1.0, v9, 1.0
	v_fma_f32 v5, -v1, v2, 1.0
	v_fmac_f32_e32 v2, v5, v2
	v_mul_f32_e32 v5, v4, v2
	v_fma_f32 v6, -v1, v5, v4
	v_fmac_f32_e32 v5, v6, v2
	v_fma_f32 v1, -v1, v5, v4
	v_div_fmas_f32 v1, v1, v2, v5
	v_div_fixup_f32 v2, v1, v9, 1.0
.LBB19_32:
	v_cvt_f32_f16_sdwa v11, v15 dst_sel:DWORD dst_unused:UNUSED_PAD src0_sel:WORD_1
	v_cvt_f32_f16_e32 v10, v15
	v_cvt_f32_f16_sdwa v13, v7 dst_sel:DWORD dst_unused:UNUSED_PAD src0_sel:WORD_1
	v_cvt_f32_f16_e32 v12, v7
	v_add_u32_e32 v0, s8, v0
	v_lshl_add_u32 v4, v0, 7, v19
	v_mov_b32_e32 v5, 0
	v_lshl_add_u64 v[14:15], v[4:5], 2, s[16:17]
	v_pk_mul_f32 v[4:5], v[2:3], v[10:11] op_sel_hi:[0,1]
	v_pk_mul_f32 v[6:7], v[2:3], v[12:13] op_sel_hi:[0,1]
	global_store_dwordx4 v[14:15], v[4:7], off
	s_and_b64 exec, exec, s[4:5]
	s_cbranch_execz .LBB19_34
; %bb.33:
	v_ashrrev_i32_e32 v1, 31, v0
	v_lshl_add_u64 v[0:1], v[0:1], 3, s[18:19]
	v_mov_b32_e32 v8, v3
	global_store_dwordx2 v[0:1], v[8:9], off
.LBB19_34:
	s_endpgm
.LBB19_35:
                                        ; implicit-def: $vgpr6
                                        ; implicit-def: $vgpr40
                                        ; implicit-def: $vgpr41
                                        ; implicit-def: $vgpr43
                                        ; implicit-def: $vgpr44
                                        ; implicit-def: $vgpr42
                                        ; implicit-def: $vgpr39
	v_lshlrev_b32_e32 v19, 2, v4
.LBB19_36:
	s_sub_i32 s4, 0, s36
	s_mul_i32 s4, s4, s24
	s_mul_hi_u32 s4, s24, s4
	s_abs_i32 s15, s29
	s_add_i32 s24, s24, s4
	s_mul_hi_u32 s34, s15, s24
	s_load_dwordx4 s[24:27], s[0:1], 0x98
	s_load_dword s10, s[0:1], 0x54
	s_load_dwordx2 s[4:5], s[0:1], 0x8c
	s_ashr_i32 s38, s29, 31
	s_ashr_i32 s37, s37, 31
	s_waitcnt lgkmcnt(0)
	s_ashr_i32 s11, s26, 2
	s_ashr_i32 s26, s35, 1
	s_ashr_i32 s35, s33, 31
	s_ashr_i32 s14, s4, 2
	s_mul_hi_u32 s4, s24, s33
	s_mul_i32 s39, s24, s35
	s_add_i32 s4, s4, s39
	s_mul_i32 s25, s25, s33
	s_add_i32 s4, s4, s25
	s_mul_i32 s24, s24, s33
	s_add_u32 s6, s6, s24
	s_mul_i32 s24, s34, s36
	s_addc_u32 s7, s7, s4
	s_sub_i32 s15, s15, s24
	s_xor_b32 s4, s38, s37
	s_add_i32 s24, s34, 1
	s_sub_i32 s25, s15, s36
	s_cmp_ge_u32 s15, s36
	s_cselect_b32 s24, s24, s34
	s_cselect_b32 s15, s25, s15
	s_add_i32 s25, s24, 1
	s_cmp_ge_u32 s15, s36
	s_cselect_b32 s15, s25, s24
	s_load_dwordx2 s[20:21], s[0:1], 0xa8
	s_xor_b32 s15, s15, s4
	s_sub_i32 s15, s15, s4
	s_mul_i32 s4, s15, s5
	s_ashr_i32 s5, s4, 31
	s_add_u32 s4, s6, s4
	s_addc_u32 s5, s7, s5
	s_waitcnt lgkmcnt(0)
	s_mul_hi_u32 s6, s20, s33
	s_mul_i32 s7, s20, s35
	s_add_i32 s6, s6, s7
	s_mul_i32 s7, s21, s33
	s_add_i32 s6, s6, s7
	s_mul_i32 s7, s20, s33
	s_add_u32 s7, s8, s7
	s_mul_i32 s15, s15, s27
	s_addc_u32 s8, s9, s6
	s_ashr_i32 s9, s15, 31
	v_lshrrev_b32_e32 v1, 3, v4
	s_add_u32 s6, s7, s15
	v_add_u32_e32 v1, v1, v7
	v_and_b32_e32 v2, 28, v19
	s_addc_u32 s7, s8, s9
	v_mul_u32_u24_e32 v3, 0x90, v1
	v_lshlrev_b32_e32 v6, 2, v2
	s_movk_i32 s9, 0x3000
	v_mul_lo_u32 v2, s14, v1
	s_movk_i32 s8, 0x90
	v_add3_u32 v23, v3, v6, s9
	v_ashrrev_i32_e32 v3, 31, v2
	v_mov_b32_e32 v1, 0x3000
	v_lshl_add_u64 v[2:3], v[2:3], 2, s[4:5]
	v_mov_b32_e32 v7, 0
	v_mad_u32_u24 v24, v4, s8, v1
	v_mov_b32_e32 v1, 0x4200
	v_lshl_add_u64 v[12:13], v[2:3], 0, v[6:7]
	v_lshl_add_u32 v25, v8, 8, v1
	v_lshrrev_b32_e32 v1, 4, v4
	v_and_b32_e32 v2, 60, v19
	v_lshl_add_u32 v1, v8, 1, v1
	v_lshlrev_b32_e32 v6, 2, v2
	v_lshl_or_b32 v2, v1, 8, v6
	v_add_u32_e32 v26, 0x3000, v2
	v_mul_lo_u32 v2, s11, v1
	v_mad_u64_u32 v[14:15], s[4:5], v9, s26, v[4:5]
	v_ashrrev_i32_e32 v3, 31, v2
	v_lshl_add_u64 v[2:3], v[2:3], 2, s[6:7]
	s_add_u32 s4, s0, 0xd0
	v_lshl_add_u64 v[16:17], v[2:3], 0, v[6:7]
	s_addc_u32 s5, s1, 0
	v_mov_b32_e32 v37, 0xfeffffff
	s_mov_b32 s8, 0x3f200000
	s_mov_b32 s9, 0x3fb8aa3b
	;; [unrolled: 1-line block ×4, first 2 shown]
	v_mov_b32_e32 v28, 0x3ca908c9
	s_brev_b32 s21, -2
	s_mov_b32 s24, 0x10001
	v_mov_b32_e32 v30, 0x7f800000
	v_mbcnt_hi_u32_b32 v6, -1, v0
	v_mov_b32_e32 v15, v7
	v_mov_b32_e32 v27, v7
	;; [unrolled: 1-line block ×14, first 2 shown]
                                        ; implicit-def: $vgpr1
                                        ; implicit-def: $vgpr1
	;; [unrolled: 1-line block ×3, first 2 shown]
.LBB19_37:                              ; =>This Inner Loop Header: Depth=1
	s_mul_hi_i32 s7, s2, s14
	s_mul_i32 s6, s2, s14
	v_lshl_add_u64 v[0:1], s[6:7], 2, v[12:13]
	global_load_dwordx4 v[40:43], v[0:1], off
	v_mov_b32_e32 v39, 0
	v_mov_b32_e32 v38, 0
	;; [unrolled: 1-line block ×4, first 2 shown]
	s_waitcnt vmcnt(0)
	ds_write_b128 v23, v[40:43]
	s_waitcnt lgkmcnt(0)
	s_barrier
	ds_read_b128 v[40:43], v24
	ds_read_b128 v[44:47], v21
	ds_read_b128 v[48:51], v21 offset:384
	ds_read_b128 v[52:55], v21 offset:768
	;; [unrolled: 1-line block ×3, first 2 shown]
	s_waitcnt lgkmcnt(3)
	;;#ASMSTART
	v_dot2_f32_f16 v39, v40, v44, v39
	;;#ASMEND
	s_nop 0
	;;#ASMSTART
	v_dot2_f32_f16 v39, v41, v45, v39
	;;#ASMEND
	s_nop 0
	;;#ASMSTART
	v_dot2_f32_f16 v39, v42, v46, v39
	;;#ASMEND
	s_nop 0
	;;#ASMSTART
	v_dot2_f32_f16 v39, v43, v47, v39
	;;#ASMEND
	s_waitcnt lgkmcnt(2)
	;;#ASMSTART
	v_dot2_f32_f16 v38, v40, v48, v38
	;;#ASMEND
	s_nop 0
	;;#ASMSTART
	v_dot2_f32_f16 v38, v41, v49, v38
	;;#ASMEND
	s_nop 0
	;;#ASMSTART
	v_dot2_f32_f16 v38, v42, v50, v38
	;;#ASMEND
	s_nop 0
	;;#ASMSTART
	v_dot2_f32_f16 v38, v43, v51, v38
	;;#ASMEND
	;; [unrolled: 16-line block ×4, first 2 shown]
	ds_read_b128 v[40:43], v24 offset:16
	ds_read_b128 v[44:47], v21 offset:16
	;; [unrolled: 1-line block ×5, first 2 shown]
	s_waitcnt lgkmcnt(3)
	;;#ASMSTART
	v_dot2_f32_f16 v39, v40, v44, v39
	;;#ASMEND
	s_nop 0
	;;#ASMSTART
	v_dot2_f32_f16 v39, v41, v45, v39
	;;#ASMEND
	s_nop 0
	;;#ASMSTART
	v_dot2_f32_f16 v39, v42, v46, v39
	;;#ASMEND
	s_nop 0
	;;#ASMSTART
	v_dot2_f32_f16 v39, v43, v47, v39
	;;#ASMEND
	s_waitcnt lgkmcnt(2)
	;;#ASMSTART
	v_dot2_f32_f16 v38, v40, v48, v38
	;;#ASMEND
	s_nop 0
	;;#ASMSTART
	v_dot2_f32_f16 v38, v41, v49, v38
	;;#ASMEND
	s_nop 0
	;;#ASMSTART
	v_dot2_f32_f16 v38, v42, v50, v38
	;;#ASMEND
	s_nop 0
	;;#ASMSTART
	v_dot2_f32_f16 v38, v43, v51, v38
	;;#ASMEND
	;; [unrolled: 16-line block ×4, first 2 shown]
	ds_read_b128 v[40:43], v24 offset:32
	ds_read_b128 v[44:47], v21 offset:32
	;; [unrolled: 1-line block ×5, first 2 shown]
	s_waitcnt lgkmcnt(3)
	;;#ASMSTART
	v_dot2_f32_f16 v39, v40, v44, v39
	;;#ASMEND
	s_nop 0
	;;#ASMSTART
	v_dot2_f32_f16 v39, v41, v45, v39
	;;#ASMEND
	s_nop 0
	;;#ASMSTART
	v_dot2_f32_f16 v39, v42, v46, v39
	;;#ASMEND
	s_nop 0
	;;#ASMSTART
	v_dot2_f32_f16 v39, v43, v47, v39
	;;#ASMEND
	s_waitcnt lgkmcnt(2)
	;;#ASMSTART
	v_dot2_f32_f16 v38, v40, v48, v38
	;;#ASMEND
	s_nop 0
	;;#ASMSTART
	v_dot2_f32_f16 v38, v41, v49, v38
	;;#ASMEND
	s_nop 0
	;;#ASMSTART
	v_dot2_f32_f16 v38, v42, v50, v38
	;;#ASMEND
	s_nop 0
	;;#ASMSTART
	v_dot2_f32_f16 v38, v43, v51, v38
	;;#ASMEND
	;; [unrolled: 16-line block ×4, first 2 shown]
	ds_read_b128 v[40:43], v24 offset:48
	ds_read_b128 v[44:47], v21 offset:48
	;; [unrolled: 1-line block ×5, first 2 shown]
	s_waitcnt lgkmcnt(3)
	;;#ASMSTART
	v_dot2_f32_f16 v39, v40, v44, v39
	;;#ASMEND
	s_nop 0
	;;#ASMSTART
	v_dot2_f32_f16 v39, v41, v45, v39
	;;#ASMEND
	s_nop 0
	;;#ASMSTART
	v_dot2_f32_f16 v39, v42, v46, v39
	;;#ASMEND
	s_nop 0
	;;#ASMSTART
	v_dot2_f32_f16 v39, v43, v47, v39
	;;#ASMEND
	s_waitcnt lgkmcnt(2)
	;;#ASMSTART
	v_dot2_f32_f16 v38, v40, v48, v38
	;;#ASMEND
	s_nop 0
	;;#ASMSTART
	v_dot2_f32_f16 v38, v41, v49, v38
	;;#ASMEND
	s_nop 0
	;;#ASMSTART
	v_dot2_f32_f16 v38, v42, v50, v38
	;;#ASMEND
	s_nop 0
	;;#ASMSTART
	v_dot2_f32_f16 v38, v43, v51, v38
	;;#ASMEND
	;; [unrolled: 16-line block ×4, first 2 shown]
	ds_read_b128 v[40:43], v24 offset:64
	ds_read_b128 v[44:47], v21 offset:64
	;; [unrolled: 1-line block ×5, first 2 shown]
	s_waitcnt lgkmcnt(3)
	;;#ASMSTART
	v_dot2_f32_f16 v39, v40, v44, v39
	;;#ASMEND
	s_nop 0
	;;#ASMSTART
	v_dot2_f32_f16 v39, v41, v45, v39
	;;#ASMEND
	s_nop 0
	;;#ASMSTART
	v_dot2_f32_f16 v39, v42, v46, v39
	;;#ASMEND
	s_nop 0
	;;#ASMSTART
	v_dot2_f32_f16 v39, v43, v47, v39
	;;#ASMEND
	s_waitcnt lgkmcnt(2)
	;;#ASMSTART
	v_dot2_f32_f16 v38, v40, v48, v38
	;;#ASMEND
	s_nop 0
	;;#ASMSTART
	v_dot2_f32_f16 v38, v41, v49, v38
	;;#ASMEND
	s_nop 0
	;;#ASMSTART
	v_dot2_f32_f16 v38, v42, v50, v38
	;;#ASMEND
	s_nop 0
	;;#ASMSTART
	v_dot2_f32_f16 v38, v43, v51, v38
	;;#ASMEND
	;; [unrolled: 16-line block ×4, first 2 shown]
	ds_read_b128 v[40:43], v24 offset:80
	ds_read_b128 v[44:47], v21 offset:80
	;; [unrolled: 1-line block ×5, first 2 shown]
	s_waitcnt lgkmcnt(3)
	;;#ASMSTART
	v_dot2_f32_f16 v39, v40, v44, v39
	;;#ASMEND
	s_nop 0
	;;#ASMSTART
	v_dot2_f32_f16 v39, v41, v45, v39
	;;#ASMEND
	s_nop 0
	;;#ASMSTART
	v_dot2_f32_f16 v39, v42, v46, v39
	;;#ASMEND
	s_nop 0
	;;#ASMSTART
	v_dot2_f32_f16 v39, v43, v47, v39
	;;#ASMEND
	s_waitcnt lgkmcnt(2)
	;;#ASMSTART
	v_dot2_f32_f16 v38, v40, v48, v38
	;;#ASMEND
	s_nop 0
	;;#ASMSTART
	v_dot2_f32_f16 v38, v41, v49, v38
	;;#ASMEND
	s_nop 0
	;;#ASMSTART
	v_dot2_f32_f16 v38, v42, v50, v38
	;;#ASMEND
	s_nop 0
	;;#ASMSTART
	v_dot2_f32_f16 v38, v43, v51, v38
	;;#ASMEND
	;; [unrolled: 16-line block ×4, first 2 shown]
	ds_read_b128 v[40:43], v24 offset:96
	ds_read_b128 v[44:47], v21 offset:96
	;; [unrolled: 1-line block ×5, first 2 shown]
	s_waitcnt lgkmcnt(3)
	;;#ASMSTART
	v_dot2_f32_f16 v39, v40, v44, v39
	;;#ASMEND
	s_nop 0
	;;#ASMSTART
	v_dot2_f32_f16 v39, v41, v45, v39
	;;#ASMEND
	s_nop 0
	;;#ASMSTART
	v_dot2_f32_f16 v39, v42, v46, v39
	;;#ASMEND
	s_nop 0
	;;#ASMSTART
	v_dot2_f32_f16 v39, v43, v47, v39
	;;#ASMEND
	s_waitcnt lgkmcnt(2)
	;;#ASMSTART
	v_dot2_f32_f16 v38, v40, v48, v38
	;;#ASMEND
	s_nop 0
	;;#ASMSTART
	v_dot2_f32_f16 v38, v41, v49, v38
	;;#ASMEND
	s_nop 0
	;;#ASMSTART
	v_dot2_f32_f16 v38, v42, v50, v38
	;;#ASMEND
	s_nop 0
	;;#ASMSTART
	v_dot2_f32_f16 v38, v43, v51, v38
	;;#ASMEND
	;; [unrolled: 16-line block ×4, first 2 shown]
	ds_read_b128 v[40:43], v24 offset:112
	ds_read_b128 v[44:47], v21 offset:112
	;; [unrolled: 1-line block ×5, first 2 shown]
	s_waitcnt lgkmcnt(3)
	;;#ASMSTART
	v_dot2_f32_f16 v39, v40, v44, v39
	;;#ASMEND
	s_nop 0
	;;#ASMSTART
	v_dot2_f32_f16 v39, v41, v45, v39
	;;#ASMEND
	s_nop 0
	;;#ASMSTART
	v_dot2_f32_f16 v39, v42, v46, v39
	;;#ASMEND
	s_nop 0
	;;#ASMSTART
	v_dot2_f32_f16 v39, v43, v47, v39
	;;#ASMEND
	s_waitcnt lgkmcnt(2)
	;;#ASMSTART
	v_dot2_f32_f16 v38, v40, v48, v38
	;;#ASMEND
	s_nop 0
	;;#ASMSTART
	v_dot2_f32_f16 v38, v41, v49, v38
	;;#ASMEND
	s_nop 0
	;;#ASMSTART
	v_dot2_f32_f16 v38, v42, v50, v38
	;;#ASMEND
	s_nop 0
	;;#ASMSTART
	v_dot2_f32_f16 v38, v43, v51, v38
	;;#ASMEND
	;; [unrolled: 16-line block ×4, first 2 shown]
	s_barrier
	global_load_dwordx4 v[40:43], v[0:1], off offset:128
	s_waitcnt vmcnt(0)
	ds_write_b128 v23, v[40:43]
	s_waitcnt lgkmcnt(0)
	s_barrier
	ds_read_b128 v[40:43], v24
	ds_read_b128 v[44:47], v21 offset:128
	ds_read_b128 v[48:51], v21 offset:512
	;; [unrolled: 1-line block ×4, first 2 shown]
	s_waitcnt lgkmcnt(3)
	;;#ASMSTART
	v_dot2_f32_f16 v39, v40, v44, v39
	;;#ASMEND
	s_nop 0
	;;#ASMSTART
	v_dot2_f32_f16 v39, v41, v45, v39
	;;#ASMEND
	s_nop 0
	;;#ASMSTART
	v_dot2_f32_f16 v39, v42, v46, v39
	;;#ASMEND
	s_nop 0
	;;#ASMSTART
	v_dot2_f32_f16 v39, v43, v47, v39
	;;#ASMEND
	s_waitcnt lgkmcnt(2)
	;;#ASMSTART
	v_dot2_f32_f16 v38, v40, v48, v38
	;;#ASMEND
	s_nop 0
	;;#ASMSTART
	v_dot2_f32_f16 v38, v41, v49, v38
	;;#ASMEND
	s_nop 0
	;;#ASMSTART
	v_dot2_f32_f16 v38, v42, v50, v38
	;;#ASMEND
	s_nop 0
	;;#ASMSTART
	v_dot2_f32_f16 v38, v43, v51, v38
	;;#ASMEND
	;; [unrolled: 16-line block ×4, first 2 shown]
	ds_read_b128 v[40:43], v24 offset:16
	ds_read_b128 v[44:47], v21 offset:144
	;; [unrolled: 1-line block ×5, first 2 shown]
	s_waitcnt lgkmcnt(3)
	;;#ASMSTART
	v_dot2_f32_f16 v39, v40, v44, v39
	;;#ASMEND
	s_nop 0
	;;#ASMSTART
	v_dot2_f32_f16 v39, v41, v45, v39
	;;#ASMEND
	s_nop 0
	;;#ASMSTART
	v_dot2_f32_f16 v39, v42, v46, v39
	;;#ASMEND
	s_nop 0
	;;#ASMSTART
	v_dot2_f32_f16 v39, v43, v47, v39
	;;#ASMEND
	s_waitcnt lgkmcnt(2)
	;;#ASMSTART
	v_dot2_f32_f16 v38, v40, v48, v38
	;;#ASMEND
	s_nop 0
	;;#ASMSTART
	v_dot2_f32_f16 v38, v41, v49, v38
	;;#ASMEND
	s_nop 0
	;;#ASMSTART
	v_dot2_f32_f16 v38, v42, v50, v38
	;;#ASMEND
	s_nop 0
	;;#ASMSTART
	v_dot2_f32_f16 v38, v43, v51, v38
	;;#ASMEND
	;; [unrolled: 16-line block ×4, first 2 shown]
	ds_read_b128 v[40:43], v24 offset:32
	ds_read_b128 v[44:47], v21 offset:160
	;; [unrolled: 1-line block ×5, first 2 shown]
	s_waitcnt lgkmcnt(3)
	;;#ASMSTART
	v_dot2_f32_f16 v39, v40, v44, v39
	;;#ASMEND
	s_nop 0
	;;#ASMSTART
	v_dot2_f32_f16 v39, v41, v45, v39
	;;#ASMEND
	s_nop 0
	;;#ASMSTART
	v_dot2_f32_f16 v39, v42, v46, v39
	;;#ASMEND
	s_nop 0
	;;#ASMSTART
	v_dot2_f32_f16 v39, v43, v47, v39
	;;#ASMEND
	s_waitcnt lgkmcnt(2)
	;;#ASMSTART
	v_dot2_f32_f16 v38, v40, v48, v38
	;;#ASMEND
	s_nop 0
	;;#ASMSTART
	v_dot2_f32_f16 v38, v41, v49, v38
	;;#ASMEND
	s_nop 0
	;;#ASMSTART
	v_dot2_f32_f16 v38, v42, v50, v38
	;;#ASMEND
	s_nop 0
	;;#ASMSTART
	v_dot2_f32_f16 v38, v43, v51, v38
	;;#ASMEND
	;; [unrolled: 16-line block ×4, first 2 shown]
	ds_read_b128 v[40:43], v24 offset:48
	ds_read_b128 v[44:47], v21 offset:176
	;; [unrolled: 1-line block ×5, first 2 shown]
	s_waitcnt lgkmcnt(3)
	;;#ASMSTART
	v_dot2_f32_f16 v39, v40, v44, v39
	;;#ASMEND
	s_nop 0
	;;#ASMSTART
	v_dot2_f32_f16 v39, v41, v45, v39
	;;#ASMEND
	s_nop 0
	;;#ASMSTART
	v_dot2_f32_f16 v39, v42, v46, v39
	;;#ASMEND
	s_nop 0
	;;#ASMSTART
	v_dot2_f32_f16 v39, v43, v47, v39
	;;#ASMEND
	s_waitcnt lgkmcnt(2)
	;;#ASMSTART
	v_dot2_f32_f16 v38, v40, v48, v38
	;;#ASMEND
	s_nop 0
	;;#ASMSTART
	v_dot2_f32_f16 v38, v41, v49, v38
	;;#ASMEND
	s_nop 0
	;;#ASMSTART
	v_dot2_f32_f16 v38, v42, v50, v38
	;;#ASMEND
	s_nop 0
	;;#ASMSTART
	v_dot2_f32_f16 v38, v43, v51, v38
	;;#ASMEND
	;; [unrolled: 16-line block ×4, first 2 shown]
	ds_read_b128 v[40:43], v24 offset:64
	ds_read_b128 v[44:47], v21 offset:192
	;; [unrolled: 1-line block ×5, first 2 shown]
	s_waitcnt lgkmcnt(3)
	;;#ASMSTART
	v_dot2_f32_f16 v39, v40, v44, v39
	;;#ASMEND
	s_nop 0
	;;#ASMSTART
	v_dot2_f32_f16 v39, v41, v45, v39
	;;#ASMEND
	s_nop 0
	;;#ASMSTART
	v_dot2_f32_f16 v39, v42, v46, v39
	;;#ASMEND
	s_nop 0
	;;#ASMSTART
	v_dot2_f32_f16 v39, v43, v47, v39
	;;#ASMEND
	s_waitcnt lgkmcnt(2)
	;;#ASMSTART
	v_dot2_f32_f16 v38, v40, v48, v38
	;;#ASMEND
	s_nop 0
	;;#ASMSTART
	v_dot2_f32_f16 v38, v41, v49, v38
	;;#ASMEND
	s_nop 0
	;;#ASMSTART
	v_dot2_f32_f16 v38, v42, v50, v38
	;;#ASMEND
	s_nop 0
	;;#ASMSTART
	v_dot2_f32_f16 v38, v43, v51, v38
	;;#ASMEND
	;; [unrolled: 16-line block ×4, first 2 shown]
	ds_read_b128 v[40:43], v24 offset:80
	ds_read_b128 v[44:47], v21 offset:208
	;; [unrolled: 1-line block ×5, first 2 shown]
	s_waitcnt lgkmcnt(3)
	;;#ASMSTART
	v_dot2_f32_f16 v39, v40, v44, v39
	;;#ASMEND
	s_nop 0
	;;#ASMSTART
	v_dot2_f32_f16 v39, v41, v45, v39
	;;#ASMEND
	s_nop 0
	;;#ASMSTART
	v_dot2_f32_f16 v39, v42, v46, v39
	;;#ASMEND
	s_nop 0
	;;#ASMSTART
	v_dot2_f32_f16 v39, v43, v47, v39
	;;#ASMEND
	s_waitcnt lgkmcnt(2)
	;;#ASMSTART
	v_dot2_f32_f16 v38, v40, v48, v38
	;;#ASMEND
	s_nop 0
	;;#ASMSTART
	v_dot2_f32_f16 v38, v41, v49, v38
	;;#ASMEND
	s_nop 0
	;;#ASMSTART
	v_dot2_f32_f16 v38, v42, v50, v38
	;;#ASMEND
	s_nop 0
	;;#ASMSTART
	v_dot2_f32_f16 v38, v43, v51, v38
	;;#ASMEND
	;; [unrolled: 16-line block ×4, first 2 shown]
	ds_read_b128 v[40:43], v24 offset:96
	ds_read_b128 v[44:47], v21 offset:224
	;; [unrolled: 1-line block ×5, first 2 shown]
	s_waitcnt lgkmcnt(3)
	;;#ASMSTART
	v_dot2_f32_f16 v39, v40, v44, v39
	;;#ASMEND
	s_nop 0
	;;#ASMSTART
	v_dot2_f32_f16 v39, v41, v45, v39
	;;#ASMEND
	s_nop 0
	;;#ASMSTART
	v_dot2_f32_f16 v39, v42, v46, v39
	;;#ASMEND
	s_nop 0
	;;#ASMSTART
	v_dot2_f32_f16 v39, v43, v47, v39
	;;#ASMEND
	s_waitcnt lgkmcnt(2)
	;;#ASMSTART
	v_dot2_f32_f16 v38, v40, v48, v38
	;;#ASMEND
	s_nop 0
	;;#ASMSTART
	v_dot2_f32_f16 v38, v41, v49, v38
	;;#ASMEND
	s_nop 0
	;;#ASMSTART
	v_dot2_f32_f16 v38, v42, v50, v38
	;;#ASMEND
	s_nop 0
	;;#ASMSTART
	v_dot2_f32_f16 v38, v43, v51, v38
	;;#ASMEND
	;; [unrolled: 16-line block ×4, first 2 shown]
	ds_read_b128 v[40:43], v24 offset:112
	ds_read_b128 v[44:47], v21 offset:240
	;; [unrolled: 1-line block ×5, first 2 shown]
	s_waitcnt lgkmcnt(3)
	;;#ASMSTART
	v_dot2_f32_f16 v39, v40, v44, v39
	;;#ASMEND
	s_nop 0
	;;#ASMSTART
	v_dot2_f32_f16 v39, v41, v45, v39
	;;#ASMEND
	s_nop 0
	;;#ASMSTART
	v_dot2_f32_f16 v39, v42, v46, v39
	;;#ASMEND
	s_nop 0
	;;#ASMSTART
	v_dot2_f32_f16 v39, v43, v47, v39
	;;#ASMEND
	s_waitcnt lgkmcnt(2)
	;;#ASMSTART
	v_dot2_f32_f16 v38, v40, v48, v38
	;;#ASMEND
	s_nop 0
	;;#ASMSTART
	v_dot2_f32_f16 v38, v41, v49, v38
	;;#ASMEND
	s_nop 0
	;;#ASMSTART
	v_dot2_f32_f16 v38, v42, v50, v38
	;;#ASMEND
	s_nop 0
	;;#ASMSTART
	v_dot2_f32_f16 v38, v43, v51, v38
	;;#ASMEND
	;; [unrolled: 16-line block ×4, first 2 shown]
	s_barrier
	global_load_dwordx4 v[40:43], v[0:1], off offset:256
	v_add_u32_e32 v0, s2, v14
	v_ashrrev_i32_e32 v1, 31, v0
	v_lshl_add_u64 v[0:1], v[0:1], 1, s[30:31]
	s_waitcnt vmcnt(0)
	ds_write_b128 v23, v[40:43]
	s_waitcnt lgkmcnt(0)
	s_barrier
	ds_read_b128 v[40:43], v24
	ds_read_b128 v[44:47], v21 offset:256
	ds_read_b128 v[48:51], v21 offset:640
	;; [unrolled: 1-line block ×4, first 2 shown]
	s_waitcnt lgkmcnt(3)
	;;#ASMSTART
	v_dot2_f32_f16 v39, v40, v44, v39
	;;#ASMEND
	s_nop 0
	;;#ASMSTART
	v_dot2_f32_f16 v39, v41, v45, v39
	;;#ASMEND
	s_nop 0
	;;#ASMSTART
	v_dot2_f32_f16 v39, v42, v46, v39
	;;#ASMEND
	s_nop 0
	;;#ASMSTART
	v_dot2_f32_f16 v39, v43, v47, v39
	;;#ASMEND
	s_waitcnt lgkmcnt(2)
	;;#ASMSTART
	v_dot2_f32_f16 v38, v40, v48, v38
	;;#ASMEND
	s_nop 0
	;;#ASMSTART
	v_dot2_f32_f16 v38, v41, v49, v38
	;;#ASMEND
	s_nop 0
	;;#ASMSTART
	v_dot2_f32_f16 v38, v42, v50, v38
	;;#ASMEND
	s_nop 0
	;;#ASMSTART
	v_dot2_f32_f16 v38, v43, v51, v38
	;;#ASMEND
	s_waitcnt lgkmcnt(1)
	;;#ASMSTART
	v_dot2_f32_f16 v3, v40, v52, v3
	;;#ASMEND
	s_nop 0
	;;#ASMSTART
	v_dot2_f32_f16 v3, v41, v53, v3
	;;#ASMEND
	s_nop 0
	;;#ASMSTART
	v_dot2_f32_f16 v3, v42, v54, v3
	;;#ASMEND
	s_nop 0
	;;#ASMSTART
	v_dot2_f32_f16 v3, v43, v55, v3
	;;#ASMEND
	s_waitcnt lgkmcnt(0)
	;;#ASMSTART
	v_dot2_f32_f16 v2, v40, v56, v2
	;;#ASMEND
	s_nop 0
	;;#ASMSTART
	v_dot2_f32_f16 v2, v41, v57, v2
	;;#ASMEND
	s_nop 0
	;;#ASMSTART
	v_dot2_f32_f16 v2, v42, v58, v2
	;;#ASMEND
	s_nop 0
	;;#ASMSTART
	v_dot2_f32_f16 v2, v43, v59, v2
	;;#ASMEND
	ds_read_b128 v[40:43], v24 offset:16
	ds_read_b128 v[44:47], v21 offset:272
	;; [unrolled: 1-line block ×5, first 2 shown]
	s_waitcnt lgkmcnt(3)
	;;#ASMSTART
	v_dot2_f32_f16 v39, v40, v44, v39
	;;#ASMEND
	s_nop 0
	;;#ASMSTART
	v_dot2_f32_f16 v39, v41, v45, v39
	;;#ASMEND
	s_nop 0
	;;#ASMSTART
	v_dot2_f32_f16 v39, v42, v46, v39
	;;#ASMEND
	s_nop 0
	;;#ASMSTART
	v_dot2_f32_f16 v39, v43, v47, v39
	;;#ASMEND
	s_waitcnt lgkmcnt(2)
	;;#ASMSTART
	v_dot2_f32_f16 v38, v40, v48, v38
	;;#ASMEND
	s_nop 0
	;;#ASMSTART
	v_dot2_f32_f16 v38, v41, v49, v38
	;;#ASMEND
	s_nop 0
	;;#ASMSTART
	v_dot2_f32_f16 v38, v42, v50, v38
	;;#ASMEND
	s_nop 0
	;;#ASMSTART
	v_dot2_f32_f16 v38, v43, v51, v38
	;;#ASMEND
	;; [unrolled: 16-line block ×4, first 2 shown]
	ds_read_b128 v[40:43], v24 offset:32
	ds_read_b128 v[44:47], v21 offset:288
	;; [unrolled: 1-line block ×5, first 2 shown]
	s_waitcnt lgkmcnt(3)
	;;#ASMSTART
	v_dot2_f32_f16 v39, v40, v44, v39
	;;#ASMEND
	s_nop 0
	;;#ASMSTART
	v_dot2_f32_f16 v39, v41, v45, v39
	;;#ASMEND
	s_nop 0
	;;#ASMSTART
	v_dot2_f32_f16 v39, v42, v46, v39
	;;#ASMEND
	s_nop 0
	;;#ASMSTART
	v_dot2_f32_f16 v39, v43, v47, v39
	;;#ASMEND
	s_waitcnt lgkmcnt(2)
	;;#ASMSTART
	v_dot2_f32_f16 v38, v40, v48, v38
	;;#ASMEND
	s_nop 0
	;;#ASMSTART
	v_dot2_f32_f16 v38, v41, v49, v38
	;;#ASMEND
	s_nop 0
	;;#ASMSTART
	v_dot2_f32_f16 v38, v42, v50, v38
	;;#ASMEND
	s_nop 0
	;;#ASMSTART
	v_dot2_f32_f16 v38, v43, v51, v38
	;;#ASMEND
	;; [unrolled: 16-line block ×4, first 2 shown]
	ds_read_b128 v[40:43], v24 offset:48
	ds_read_b128 v[44:47], v21 offset:304
	;; [unrolled: 1-line block ×5, first 2 shown]
	s_waitcnt lgkmcnt(3)
	;;#ASMSTART
	v_dot2_f32_f16 v39, v40, v44, v39
	;;#ASMEND
	s_nop 0
	;;#ASMSTART
	v_dot2_f32_f16 v39, v41, v45, v39
	;;#ASMEND
	s_nop 0
	;;#ASMSTART
	v_dot2_f32_f16 v39, v42, v46, v39
	;;#ASMEND
	s_nop 0
	;;#ASMSTART
	v_dot2_f32_f16 v39, v43, v47, v39
	;;#ASMEND
	s_waitcnt lgkmcnt(2)
	;;#ASMSTART
	v_dot2_f32_f16 v38, v40, v48, v38
	;;#ASMEND
	s_nop 0
	;;#ASMSTART
	v_dot2_f32_f16 v38, v41, v49, v38
	;;#ASMEND
	s_nop 0
	;;#ASMSTART
	v_dot2_f32_f16 v38, v42, v50, v38
	;;#ASMEND
	s_nop 0
	;;#ASMSTART
	v_dot2_f32_f16 v38, v43, v51, v38
	;;#ASMEND
	;; [unrolled: 16-line block ×4, first 2 shown]
	ds_read_b128 v[40:43], v24 offset:64
	ds_read_b128 v[44:47], v21 offset:320
	;; [unrolled: 1-line block ×5, first 2 shown]
	s_waitcnt lgkmcnt(3)
	;;#ASMSTART
	v_dot2_f32_f16 v39, v40, v44, v39
	;;#ASMEND
	s_nop 0
	;;#ASMSTART
	v_dot2_f32_f16 v39, v41, v45, v39
	;;#ASMEND
	s_nop 0
	;;#ASMSTART
	v_dot2_f32_f16 v39, v42, v46, v39
	;;#ASMEND
	s_nop 0
	;;#ASMSTART
	v_dot2_f32_f16 v39, v43, v47, v39
	;;#ASMEND
	s_waitcnt lgkmcnt(2)
	;;#ASMSTART
	v_dot2_f32_f16 v38, v40, v48, v38
	;;#ASMEND
	s_nop 0
	;;#ASMSTART
	v_dot2_f32_f16 v38, v41, v49, v38
	;;#ASMEND
	s_nop 0
	;;#ASMSTART
	v_dot2_f32_f16 v38, v42, v50, v38
	;;#ASMEND
	s_nop 0
	;;#ASMSTART
	v_dot2_f32_f16 v38, v43, v51, v38
	;;#ASMEND
	;; [unrolled: 16-line block ×4, first 2 shown]
	ds_read_b128 v[40:43], v24 offset:80
	ds_read_b128 v[44:47], v21 offset:336
	;; [unrolled: 1-line block ×5, first 2 shown]
	s_waitcnt lgkmcnt(3)
	;;#ASMSTART
	v_dot2_f32_f16 v39, v40, v44, v39
	;;#ASMEND
	s_nop 0
	;;#ASMSTART
	v_dot2_f32_f16 v39, v41, v45, v39
	;;#ASMEND
	s_nop 0
	;;#ASMSTART
	v_dot2_f32_f16 v39, v42, v46, v39
	;;#ASMEND
	s_nop 0
	;;#ASMSTART
	v_dot2_f32_f16 v39, v43, v47, v39
	;;#ASMEND
	s_waitcnt lgkmcnt(2)
	;;#ASMSTART
	v_dot2_f32_f16 v38, v40, v48, v38
	;;#ASMEND
	s_nop 0
	;;#ASMSTART
	v_dot2_f32_f16 v38, v41, v49, v38
	;;#ASMEND
	s_nop 0
	;;#ASMSTART
	v_dot2_f32_f16 v38, v42, v50, v38
	;;#ASMEND
	s_nop 0
	;;#ASMSTART
	v_dot2_f32_f16 v38, v43, v51, v38
	;;#ASMEND
	s_waitcnt lgkmcnt(1)
	;;#ASMSTART
	v_dot2_f32_f16 v3, v40, v52, v3
	;;#ASMEND
	s_nop 0
	;;#ASMSTART
	v_dot2_f32_f16 v3, v41, v53, v3
	;;#ASMEND
	s_nop 0
	;;#ASMSTART
	v_dot2_f32_f16 v3, v42, v54, v3
	;;#ASMEND
	s_nop 0
	;;#ASMSTART
	v_dot2_f32_f16 v3, v43, v55, v3
	;;#ASMEND
	s_waitcnt lgkmcnt(0)
	;;#ASMSTART
	v_dot2_f32_f16 v2, v40, v56, v2
	;;#ASMEND
	s_nop 0
	;;#ASMSTART
	v_dot2_f32_f16 v2, v41, v57, v2
	;;#ASMEND
	s_nop 0
	;;#ASMSTART
	v_dot2_f32_f16 v2, v42, v58, v2
	;;#ASMEND
	s_nop 0
	;;#ASMSTART
	v_dot2_f32_f16 v2, v43, v59, v2
	;;#ASMEND
	ds_read_b128 v[40:43], v24 offset:96
	ds_read_b128 v[44:47], v21 offset:352
	;; [unrolled: 1-line block ×5, first 2 shown]
	s_waitcnt lgkmcnt(3)
	;;#ASMSTART
	v_dot2_f32_f16 v39, v40, v44, v39
	;;#ASMEND
	s_nop 0
	;;#ASMSTART
	v_dot2_f32_f16 v39, v41, v45, v39
	;;#ASMEND
	s_nop 0
	;;#ASMSTART
	v_dot2_f32_f16 v39, v42, v46, v39
	;;#ASMEND
	s_nop 0
	;;#ASMSTART
	v_dot2_f32_f16 v39, v43, v47, v39
	;;#ASMEND
	s_waitcnt lgkmcnt(2)
	;;#ASMSTART
	v_dot2_f32_f16 v38, v40, v48, v38
	;;#ASMEND
	s_nop 0
	;;#ASMSTART
	v_dot2_f32_f16 v38, v41, v49, v38
	;;#ASMEND
	s_nop 0
	;;#ASMSTART
	v_dot2_f32_f16 v38, v42, v50, v38
	;;#ASMEND
	s_nop 0
	;;#ASMSTART
	v_dot2_f32_f16 v38, v43, v51, v38
	;;#ASMEND
	s_waitcnt lgkmcnt(1)
	;;#ASMSTART
	v_dot2_f32_f16 v3, v40, v52, v3
	;;#ASMEND
	s_nop 0
	;;#ASMSTART
	v_dot2_f32_f16 v3, v41, v53, v3
	;;#ASMEND
	s_nop 0
	;;#ASMSTART
	v_dot2_f32_f16 v3, v42, v54, v3
	;;#ASMEND
	s_nop 0
	;;#ASMSTART
	v_dot2_f32_f16 v3, v43, v55, v3
	;;#ASMEND
	s_waitcnt lgkmcnt(0)
	;;#ASMSTART
	v_dot2_f32_f16 v2, v40, v56, v2
	;;#ASMEND
	s_nop 0
	;;#ASMSTART
	v_dot2_f32_f16 v2, v41, v57, v2
	;;#ASMEND
	s_nop 0
	;;#ASMSTART
	v_dot2_f32_f16 v2, v42, v58, v2
	;;#ASMEND
	s_nop 0
	;;#ASMSTART
	v_dot2_f32_f16 v2, v43, v59, v2
	;;#ASMEND
	ds_read_b128 v[40:43], v24 offset:112
	ds_read_b128 v[44:47], v21 offset:368
	;; [unrolled: 1-line block ×5, first 2 shown]
	s_waitcnt lgkmcnt(3)
	;;#ASMSTART
	v_dot2_f32_f16 v39, v40, v44, v39
	;;#ASMEND
	s_nop 0
	;;#ASMSTART
	v_dot2_f32_f16 v39, v41, v45, v39
	;;#ASMEND
	s_nop 0
	;; [unrolled: 4-line block ×3, first 2 shown]
	;;#ASMSTART
	v_dot2_f32_f16 v39, v43, v47, v39
	;;#ASMEND
	s_waitcnt lgkmcnt(2)
	;;#ASMSTART
	v_dot2_f32_f16 v38, v40, v48, v38
	;;#ASMEND
	s_nop 0
	;;#ASMSTART
	v_dot2_f32_f16 v38, v41, v49, v38
	;;#ASMEND
	v_cmp_nlt_f32_e64 s[6:7], |v39|, s8
	;;#ASMSTART
	v_dot2_f32_f16 v38, v42, v50, v38
	;;#ASMEND
	s_nop 0
	;;#ASMSTART
	v_dot2_f32_f16 v38, v43, v51, v38
	;;#ASMEND
	s_waitcnt lgkmcnt(1)
	;;#ASMSTART
	v_dot2_f32_f16 v3, v40, v52, v3
	;;#ASMEND
	s_nop 0
	;;#ASMSTART
	v_dot2_f32_f16 v3, v41, v53, v3
	;;#ASMEND
	s_nop 0
	;; [unrolled: 4-line block ×3, first 2 shown]
	;;#ASMSTART
	v_dot2_f32_f16 v3, v43, v55, v3
	;;#ASMEND
	s_waitcnt lgkmcnt(0)
	;;#ASMSTART
	v_dot2_f32_f16 v2, v40, v56, v2
	;;#ASMEND
	s_nop 0
	;;#ASMSTART
	v_dot2_f32_f16 v2, v41, v57, v2
	;;#ASMEND
	s_nop 0
	;;#ASMSTART
	v_dot2_f32_f16 v2, v42, v58, v2
	;;#ASMEND
	s_nop 0
	;;#ASMSTART
	v_dot2_f32_f16 v2, v43, v59, v2
	;;#ASMEND
	global_load_ushort v45, v[0:1], off
                                        ; implicit-def: $vgpr1
	s_and_saveexec_b64 s[26:27], s[6:7]
	s_xor_b64 s[6:7], exec, s[26:27]
	s_cbranch_execz .LBB19_39
; %bb.38:                               ;   in Loop: Header=BB19_37 Depth=1
	v_add_f32_e64 v0, |v39|, |v39|
	v_mul_f32_e32 v1, 0x3fb8aa3b, v0
	v_rndne_f32_e32 v40, v1
	v_sub_f32_e32 v41, v1, v40
	v_fma_f32 v1, v0, s9, -v1
	v_fmac_f32_e32 v1, 0x32a5705f, v0
	v_add_f32_e32 v1, v41, v1
	v_cvt_i32_f32_e32 v40, v40
	v_exp_f32_e32 v1, v1
	v_cmp_ngt_f32_e32 vcc, s15, v0
	v_ldexp_f32 v1, v1, v40
	s_nop 0
	v_cndmask_b32_e32 v1, 0, v1, vcc
	v_cmp_nlt_f32_e32 vcc, s20, v0
	s_nop 1
	v_cndmask_b32_e32 v0, v30, v1, vcc
	v_add_f32_e32 v0, 1.0, v0
	v_rcp_f32_e32 v0, v0
	s_nop 0
	v_fma_f32 v1, v0, -2.0, 1.0
.LBB19_39:                              ;   in Loop: Header=BB19_37 Depth=1
	s_andn2_saveexec_b64 s[6:7], s[6:7]
; %bb.40:                               ;   in Loop: Header=BB19_37 Depth=1
	v_mul_f32_e32 v0, v39, v39
	v_fmamk_f32 v1, v0, 0xbbbac73d, v28
	v_fmaak_f32 v1, v0, v1, 0xbd5c1c4e
	v_fmaak_f32 v1, v0, v1, 0x3e088382
	v_fmaak_f32 v1, v0, v1, 0xbeaaaa99
	v_mul_f32_e64 v1, |v39|, v1
	v_fma_f32 v1, v0, v1, |v39|
; %bb.41:                               ;   in Loop: Header=BB19_37 Depth=1
	s_or_b64 exec, exec, s[6:7]
	v_and_b32_e32 v0, 0x60, v6
	v_add_u32_e32 v40, 32, v0
	v_xor_b32_e32 v41, 16, v6
	v_bfi_b32 v1, s21, v1, v39
	v_cmp_lt_i32_e32 vcc, v41, v40
	s_waitcnt vmcnt(0)
	v_fma_mix_f32 v46, s10, v1, v45 op_sel_hi:[0,0,1]
	v_add_f32_e32 v1, 0x40051340, v46
	v_cndmask_b32_e32 v0, v6, v41, vcc
	v_max_f32_e32 v39, v37, v37
	v_lshlrev_b32_e32 v0, 2, v0
	v_max_f32_e32 v1, v39, v1
	ds_bpermute_b32 v39, v0, v1
	v_xor_b32_e32 v43, 8, v6
	v_cmp_lt_i32_e32 vcc, v43, v40
	v_xor_b32_e32 v44, 4, v6
	v_cmp_nlt_f32_e64 s[6:7], |v38|, s8
	v_cndmask_b32_e32 v42, v6, v43, vcc
	s_waitcnt lgkmcnt(0)
	v_max_f32_e32 v39, v39, v39
	v_lshlrev_b32_e32 v50, 2, v42
	v_max_f32_e32 v39, v1, v39
	ds_bpermute_b32 v42, v50, v39
	v_cmp_lt_i32_e32 vcc, v44, v40
	s_waitcnt lgkmcnt(0)
	v_max_f32_e32 v42, v42, v42
	v_cndmask_b32_e32 v1, v6, v44, vcc
	v_lshlrev_b32_e32 v1, 2, v1
	v_max_f32_e32 v39, v39, v42
	ds_bpermute_b32 v47, v1, v39
	v_xor_b32_e32 v42, 2, v6
	v_cmp_lt_i32_e32 vcc, v42, v40
	s_waitcnt lgkmcnt(0)
	v_max_f32_e32 v47, v47, v47
	v_cndmask_b32_e32 v48, v6, v42, vcc
	v_lshlrev_b32_e32 v49, 2, v48
	v_max_f32_e32 v47, v39, v47
	ds_bpermute_b32 v51, v49, v47
	v_xor_b32_e32 v39, 1, v6
	v_cmp_lt_i32_e32 vcc, v39, v40
	s_waitcnt lgkmcnt(0)
	v_max_f32_e32 v51, v51, v51
	v_cndmask_b32_e32 v48, v6, v39, vcc
	v_lshlrev_b32_e32 v48, 2, v48
	v_max_f32_e32 v51, v47, v51
	ds_bpermute_b32 v52, v48, v51
                                        ; implicit-def: $vgpr47
	s_and_saveexec_b64 s[26:27], s[6:7]
	s_xor_b64 s[6:7], exec, s[26:27]
	s_cbranch_execz .LBB19_43
; %bb.42:                               ;   in Loop: Header=BB19_37 Depth=1
	v_add_f32_e64 v47, |v38|, |v38|
	v_mul_f32_e32 v53, 0x3fb8aa3b, v47
	v_rndne_f32_e32 v54, v53
	v_sub_f32_e32 v55, v53, v54
	v_fma_f32 v53, v47, s9, -v53
	v_fmac_f32_e32 v53, 0x32a5705f, v47
	v_add_f32_e32 v53, v55, v53
	v_cvt_i32_f32_e32 v54, v54
	v_exp_f32_e32 v53, v53
	v_cmp_ngt_f32_e32 vcc, s15, v47
	v_ldexp_f32 v53, v53, v54
	s_nop 0
	v_cndmask_b32_e32 v53, 0, v53, vcc
	v_cmp_nlt_f32_e32 vcc, s20, v47
	s_nop 1
	v_cndmask_b32_e32 v47, v30, v53, vcc
	v_add_f32_e32 v47, 1.0, v47
	v_rcp_f32_e32 v47, v47
	s_nop 0
	v_fma_f32 v47, v47, -2.0, 1.0
.LBB19_43:                              ;   in Loop: Header=BB19_37 Depth=1
	s_andn2_saveexec_b64 s[6:7], s[6:7]
; %bb.44:                               ;   in Loop: Header=BB19_37 Depth=1
	v_mul_f32_e32 v47, v38, v38
	v_fmamk_f32 v53, v47, 0xbbbac73d, v28
	v_fmaak_f32 v53, v47, v53, 0xbd5c1c4e
	v_fmaak_f32 v53, v47, v53, 0x3e088382
	;; [unrolled: 1-line block ×3, first 2 shown]
	v_mul_f32_e64 v53, |v38|, v53
	v_fma_f32 v47, v47, v53, |v38|
; %bb.45:                               ;   in Loop: Header=BB19_37 Depth=1
	s_or_b64 exec, exec, s[6:7]
	v_cvt_f32_f16_e32 v45, v45
	v_bfi_b32 v38, s21, v47, v38
	v_max_f32_e32 v53, v36, v36
	v_cmp_nlt_f32_e64 s[6:7], |v3|, s8
	v_fma_f32 v47, s10, v38, v45
	v_add_f32_e32 v38, 0x40051340, v47
	v_max_f32_e32 v38, v53, v38
	ds_bpermute_b32 v53, v0, v38
	s_waitcnt lgkmcnt(0)
	v_max_f32_e32 v53, v53, v53
	v_max_f32_e32 v38, v38, v53
	ds_bpermute_b32 v53, v50, v38
	s_waitcnt lgkmcnt(0)
	v_max_f32_e32 v53, v53, v53
	;; [unrolled: 4-line block ×4, first 2 shown]
	v_max_f32_e32 v53, v38, v53
	ds_bpermute_b32 v54, v48, v53
                                        ; implicit-def: $vgpr38
	s_and_saveexec_b64 s[26:27], s[6:7]
	s_xor_b64 s[6:7], exec, s[26:27]
	s_cbranch_execz .LBB19_47
; %bb.46:                               ;   in Loop: Header=BB19_37 Depth=1
	v_add_f32_e64 v38, |v3|, |v3|
	v_mul_f32_e32 v55, 0x3fb8aa3b, v38
	v_rndne_f32_e32 v56, v55
	v_sub_f32_e32 v57, v55, v56
	v_fma_f32 v55, v38, s9, -v55
	v_fmac_f32_e32 v55, 0x32a5705f, v38
	v_add_f32_e32 v55, v57, v55
	v_cvt_i32_f32_e32 v56, v56
	v_exp_f32_e32 v55, v55
	v_cmp_ngt_f32_e32 vcc, s15, v38
	v_ldexp_f32 v55, v55, v56
	s_nop 0
	v_cndmask_b32_e32 v55, 0, v55, vcc
	v_cmp_nlt_f32_e32 vcc, s20, v38
	s_nop 1
	v_cndmask_b32_e32 v38, v30, v55, vcc
	v_add_f32_e32 v38, 1.0, v38
	v_rcp_f32_e32 v38, v38
	s_nop 0
	v_fma_f32 v38, v38, -2.0, 1.0
.LBB19_47:                              ;   in Loop: Header=BB19_37 Depth=1
	s_andn2_saveexec_b64 s[6:7], s[6:7]
; %bb.48:                               ;   in Loop: Header=BB19_37 Depth=1
	v_mul_f32_e32 v38, v3, v3
	v_fmamk_f32 v55, v38, 0xbbbac73d, v28
	v_fmaak_f32 v55, v38, v55, 0xbd5c1c4e
	v_fmaak_f32 v55, v38, v55, 0x3e088382
	;; [unrolled: 1-line block ×3, first 2 shown]
	v_mul_f32_e64 v55, |v3|, v55
	v_fma_f32 v38, v38, v55, |v3|
; %bb.49:                               ;   in Loop: Header=BB19_37 Depth=1
	s_or_b64 exec, exec, s[6:7]
	v_bfi_b32 v3, s21, v38, v3
	v_fma_f32 v38, s10, v3, v45
	v_add_f32_e32 v3, 0x40051340, v38
	v_max_f32_e32 v55, v35, v35
	v_max_f32_e32 v3, v55, v3
	ds_bpermute_b32 v55, v0, v3
	v_cmp_nlt_f32_e64 s[6:7], |v2|, s8
                                        ; implicit-def: $vgpr56
	s_waitcnt lgkmcnt(0)
	v_max_f32_e32 v55, v55, v55
	v_max_f32_e32 v3, v3, v55
	ds_bpermute_b32 v55, v50, v3
	s_waitcnt lgkmcnt(0)
	v_max_f32_e32 v55, v55, v55
	v_max_f32_e32 v3, v3, v55
	ds_bpermute_b32 v55, v1, v3
	s_waitcnt lgkmcnt(0)
	v_max_f32_e32 v55, v55, v55
	v_max_f32_e32 v3, v3, v55
	ds_bpermute_b32 v55, v49, v3
	s_waitcnt lgkmcnt(0)
	v_max_f32_e32 v55, v55, v55
	v_max_f32_e32 v3, v3, v55
	ds_bpermute_b32 v55, v48, v3
	s_and_saveexec_b64 s[26:27], s[6:7]
	s_xor_b64 s[6:7], exec, s[26:27]
	s_cbranch_execz .LBB19_51
; %bb.50:                               ;   in Loop: Header=BB19_37 Depth=1
	v_add_f32_e64 v56, |v2|, |v2|
	v_mul_f32_e32 v57, 0x3fb8aa3b, v56
	v_rndne_f32_e32 v58, v57
	v_sub_f32_e32 v59, v57, v58
	v_fma_f32 v57, v56, s9, -v57
	v_fmac_f32_e32 v57, 0x32a5705f, v56
	v_add_f32_e32 v57, v59, v57
	v_cvt_i32_f32_e32 v58, v58
	v_exp_f32_e32 v57, v57
	v_cmp_ngt_f32_e32 vcc, s15, v56
	v_ldexp_f32 v57, v57, v58
	s_nop 0
	v_cndmask_b32_e32 v57, 0, v57, vcc
	v_cmp_nlt_f32_e32 vcc, s20, v56
	s_nop 1
	v_cndmask_b32_e32 v56, v30, v57, vcc
	v_add_f32_e32 v56, 1.0, v56
	v_rcp_f32_e32 v56, v56
	s_nop 0
	v_fma_f32 v56, v56, -2.0, 1.0
.LBB19_51:                              ;   in Loop: Header=BB19_37 Depth=1
	s_andn2_saveexec_b64 s[6:7], s[6:7]
; %bb.52:                               ;   in Loop: Header=BB19_37 Depth=1
	v_mul_f32_e32 v56, v2, v2
	v_fmamk_f32 v57, v56, 0xbbbac73d, v28
	v_fmaak_f32 v57, v56, v57, 0xbd5c1c4e
	v_fmaak_f32 v57, v56, v57, 0x3e088382
	;; [unrolled: 1-line block ×3, first 2 shown]
	v_mul_f32_e64 v57, |v2|, v57
	v_fma_f32 v56, v56, v57, |v2|
; %bb.53:                               ;   in Loop: Header=BB19_37 Depth=1
	s_or_b64 exec, exec, s[6:7]
	v_bfi_b32 v2, s21, v56, v2
	v_fmac_f32_e32 v45, s10, v2
	v_add_f32_e32 v2, 0x40051340, v45
	v_max_f32_e32 v56, v34, v34
	v_max_f32_e32 v2, v56, v2
	ds_bpermute_b32 v0, v0, v2
	s_waitcnt lgkmcnt(1)
	v_max_f32_e32 v55, v55, v55
	v_max_f32_e32 v3, v3, v3
	;; [unrolled: 1-line block ×4, first 2 shown]
	s_waitcnt lgkmcnt(0)
	v_max_f32_e32 v0, v0, v0
	v_max_f32_e32 v0, v2, v0
	ds_bpermute_b32 v2, v50, v0
	v_max_f32_e32 v50, v53, v53
	v_max_f32_e32 v54, v54, v54
	s_mul_hi_i32 s7, s2, s11
	s_mul_i32 s6, s2, s11
	s_waitcnt lgkmcnt(0)
	v_max_f32_e32 v2, v2, v2
	v_max_f32_e32 v53, v0, v2
	ds_bpermute_b32 v56, v1, v53
	v_max_f32_e32 v2, v3, v55
	v_max_f32_e32 v0, v51, v52
	v_sub_f32_e32 v37, v37, v0
	v_max_f32_e32 v1, v50, v54
	s_waitcnt lgkmcnt(0)
	v_max_f32_e32 v3, v56, v56
	v_max_f32_e32 v3, v53, v3
	ds_bpermute_b32 v49, v49, v3
	v_mul_f32_e32 v50, 0x3fb8aa3b, v37
	v_fma_f32 v51, v37, s9, -v50
	v_rndne_f32_e32 v52, v50
	v_fmac_f32_e32 v51, 0x32a5705f, v37
	s_waitcnt lgkmcnt(0)
	v_max_f32_e32 v49, v49, v49
	v_max_f32_e32 v3, v3, v49
	ds_bpermute_b32 v48, v48, v3
	v_sub_f32_e32 v49, v50, v52
	v_add_f32_e32 v49, v49, v51
	v_cvt_i32_f32_e32 v50, v52
	v_exp_f32_e32 v49, v49
	s_waitcnt lgkmcnt(0)
	v_max_f32_e32 v48, v48, v48
	v_sub_f32_e32 v46, v46, v0
	v_max_f32_e32 v3, v3, v48
	v_ldexp_f32 v48, v49, v50
	v_mul_f32_e32 v49, 0x3fb8aa3b, v46
	v_fma_f32 v50, v46, s9, -v49
	v_rndne_f32_e32 v51, v49
	v_fmac_f32_e32 v50, 0x32a5705f, v46
	v_sub_f32_e32 v49, v49, v51
	v_add_f32_e32 v49, v49, v50
	v_exp_f32_e32 v49, v49
	v_cvt_i32_f32_e32 v51, v51
	v_cmp_ngt_f32_e32 vcc, s15, v37
	s_barrier
	s_nop 0
	v_cndmask_b32_e32 v48, 0, v48, vcc
	v_cmp_nlt_f32_e32 vcc, s20, v37
	v_ldexp_f32 v37, v49, v51
	v_sub_f32_e32 v51, v36, v1
	v_mul_f32_e32 v36, 0x3fb8aa3b, v51
	v_cndmask_b32_e32 v50, v30, v48, vcc
	v_fma_f32 v49, v51, s9, -v36
	v_rndne_f32_e32 v52, v36
	v_cmp_ngt_f32_e32 vcc, s15, v46
	v_cvt_f16_f32_e32 v48, v50
	v_fmac_f32_e32 v49, 0x32a5705f, v51
	v_sub_f32_e32 v36, v36, v52
	v_cndmask_b32_e32 v37, 0, v37, vcc
	v_add_f32_e32 v36, v36, v49
	v_cmp_nlt_f32_e32 vcc, s20, v46
	v_exp_f32_e32 v49, v36
	v_cvt_i32_f32_e32 v52, v52
	v_cndmask_b32_e32 v36, v30, v37, vcc
	v_sub_f32_e32 v37, v47, v1
	v_mul_f32_e32 v46, 0x3fb8aa3b, v37
	v_mul_u32_u24_e32 v62, 0x10001, v48
	v_fma_f32 v47, v37, s9, -v46
	v_rndne_f32_e32 v48, v46
	v_fmac_f32_e32 v47, 0x32a5705f, v37
	v_sub_f32_e32 v46, v46, v48
	v_add_f32_e32 v46, v46, v47
	v_pk_mul_f16 v63, v33, v62
	v_ldexp_f32 v33, v49, v52
	v_exp_f32_e32 v52, v46
	v_lshl_add_u64 v[46:47], s[6:7], 2, v[16:17]
	v_cvt_i32_f32_e32 v53, v48
	global_load_dwordx4 v[46:49], v[46:47], off
	v_cmp_ngt_f32_e32 vcc, s15, v51
	v_sub_f32_e32 v35, v35, v2
	s_or_b32 s6, s2, 16
	v_cndmask_b32_e32 v33, 0, v33, vcc
	v_cmp_nlt_f32_e32 vcc, s20, v51
	s_mul_hi_i32 s7, s6, s11
	s_mul_i32 s6, s6, s11
	v_cndmask_b32_e32 v51, v30, v33, vcc
	v_ldexp_f32 v33, v52, v53
	v_mul_f32_e32 v53, 0x3fb8aa3b, v35
	v_fma_f32 v54, v35, s9, -v53
	v_rndne_f32_e32 v55, v53
	v_fmac_f32_e32 v54, 0x32a5705f, v35
	v_sub_f32_e32 v53, v53, v55
	v_cvt_f16_f32_e32 v52, v51
	v_add_f32_e32 v53, v53, v54
	v_cmp_ngt_f32_e32 vcc, s15, v37
	v_exp_f32_e32 v53, v53
	v_cvt_i32_f32_e32 v54, v55
	v_cndmask_b32_e32 v33, 0, v33, vcc
	v_cmp_nlt_f32_e32 vcc, s20, v37
	v_mul_u32_u24_e32 v64, 0x10001, v52
	v_pk_mul_f16 v65, v32, v64
	v_cndmask_b32_e32 v37, v30, v33, vcc
	v_sub_f32_e32 v33, v38, v2
	v_mul_f32_e32 v38, 0x3fb8aa3b, v33
	v_ldexp_f32 v32, v53, v54
	v_fma_f32 v52, v33, s9, -v38
	v_rndne_f32_e32 v53, v38
	v_fmac_f32_e32 v52, 0x32a5705f, v33
	v_sub_f32_e32 v38, v38, v53
	v_add_f32_e32 v38, v38, v52
	v_exp_f32_e32 v38, v38
	v_cvt_i32_f32_e32 v52, v53
	v_cmp_ngt_f32_e32 vcc, s15, v35
	v_pk_fma_f32 v[10:11], v[10:11], v[50:51], v[36:37]
	s_nop 0
	v_cndmask_b32_e32 v32, 0, v32, vcc
	v_cmp_nlt_f32_e32 vcc, s20, v35
	v_ldexp_f32 v35, v38, v52
	v_sub_f32_e32 v52, v34, v3
	v_mul_f32_e32 v34, 0x3fb8aa3b, v52
	v_fma_f32 v53, v52, s9, -v34
	v_rndne_f32_e32 v54, v34
	v_fmac_f32_e32 v53, 0x32a5705f, v52
	v_sub_f32_e32 v34, v34, v54
	v_add_f32_e32 v34, v34, v53
	v_cndmask_b32_e32 v32, v30, v32, vcc
	v_cmp_ngt_f32_e32 vcc, s15, v33
	v_exp_f32_e32 v53, v34
	v_cvt_i32_f32_e32 v54, v54
	v_cndmask_b32_e32 v35, 0, v35, vcc
	v_cmp_nlt_f32_e32 vcc, s20, v33
	v_cvt_f16_f32_e32 v38, v32
	v_ldexp_f32 v33, v53, v54
	v_cndmask_b32_e32 v34, v30, v35, vcc
	v_sub_f32_e32 v35, v45, v3
	v_mul_f32_e32 v45, 0x3fb8aa3b, v35
	v_fma_f32 v53, v35, s9, -v45
	v_rndne_f32_e32 v54, v45
	v_fmac_f32_e32 v53, 0x32a5705f, v35
	v_sub_f32_e32 v45, v45, v54
	v_add_f32_e32 v45, v45, v53
	v_exp_f32_e32 v45, v45
	v_cvt_i32_f32_e32 v53, v54
	v_cmp_ngt_f32_e32 vcc, s15, v52
	v_mul_u32_u24_e32 v38, 0x10001, v38
	v_pk_mul_f16 v27, v27, v38
	v_cndmask_b32_e32 v33, 0, v33, vcc
	v_cmp_nlt_f32_e32 vcc, s20, v52
	v_ldexp_f32 v45, v45, v53
	s_nop 0
	v_cndmask_b32_e32 v33, v30, v33, vcc
	v_cvt_f16_f32_e32 v52, v33
	v_cmp_ngt_f32_e32 vcc, s15, v35
	s_nop 1
	v_cndmask_b32_e32 v45, 0, v45, vcc
	v_cmp_nlt_f32_e32 vcc, s20, v35
	s_nop 1
	v_cndmask_b32_e32 v35, v30, v45, vcc
	v_pk_fma_f32 v[8:9], v[8:9], v[32:33], v[34:35]
	v_mul_u32_u24_e32 v32, 0x10001, v52
	v_pk_mul_f16 v15, v15, v32
	v_pk_mul_f16 v7, v7, v32
	v_add_u32_e32 v45, v25, v20
	v_cvt_pk_f16_f32 v33, v34, v35
	v_cvt_pk_f16_f32 v32, v36, v37
	ds_write_b64 v45, v[32:33]
	s_waitcnt vmcnt(0)
	ds_write_b128 v26, v[46:49]
	s_waitcnt lgkmcnt(0)
	s_barrier
	v_add_u32_e32 v36, 0x3000, v20
	ds_read_b128 v[32:35], v25
	ds_read2_b64 v[46:49], v36 offset1:32
	ds_read_b128 v[50:53], v25 offset:16
	ds_read_b128 v[54:57], v25 offset:32
	ds_read_b128 v[58:61], v25 offset:48
	s_waitcnt lgkmcnt(4)
	v_mul_u32_u24_sdwa v37, v32, s24 dst_sel:DWORD dst_unused:UNUSED_PAD src0_sel:WORD_0 src1_sel:DWORD
	v_mul_u32_u24_sdwa v32, v32, s24 dst_sel:DWORD dst_unused:UNUSED_PAD src0_sel:WORD_1 src1_sel:DWORD
	s_waitcnt lgkmcnt(3)
	v_pk_mul_f16 v66, v46, v37
	v_mul_u32_u24_sdwa v45, v33, s24 dst_sel:DWORD dst_unused:UNUSED_PAD src0_sel:WORD_0 src1_sel:DWORD
	v_pk_fma_f16 v31, v31, v62, v66
	v_pk_mul_f16 v62, v46, v32
	v_mul_u32_u24_sdwa v33, v33, s24 dst_sel:DWORD dst_unused:UNUSED_PAD src0_sel:WORD_1 src1_sel:DWORD
	v_pk_fma_f16 v29, v29, v64, v62
	v_pk_mul_f16 v62, v46, v45
	v_pk_fma_f16 v15, v46, v33, v15
	v_pk_fma_f16 v22, v22, v38, v62
	;; [unrolled: 1-line block ×5, first 2 shown]
	v_mul_u32_u24_sdwa v33, v34, s24 dst_sel:DWORD dst_unused:UNUSED_PAD src0_sel:WORD_0 src1_sel:DWORD
	v_mul_u32_u24_sdwa v34, v34, s24 dst_sel:DWORD dst_unused:UNUSED_PAD src0_sel:WORD_1 src1_sel:DWORD
	v_mul_u32_u24_sdwa v38, v35, s24 dst_sel:DWORD dst_unused:UNUSED_PAD src0_sel:WORD_0 src1_sel:DWORD
	v_mul_u32_u24_sdwa v35, v35, s24 dst_sel:DWORD dst_unused:UNUSED_PAD src0_sel:WORD_1 src1_sel:DWORD
	v_pk_fma_f16 v27, v47, v45, v27
	v_pk_fma_f16 v31, v48, v33, v31
	;; [unrolled: 1-line block ×7, first 2 shown]
	ds_read2_b64 v[32:35], v36 offset0:64 offset1:96
	v_pk_fma_f16 v22, v48, v38, v22
	v_pk_fma_f16 v27, v49, v38, v27
	s_waitcnt lgkmcnt(3)
	v_mul_u32_u24_sdwa v38, v50, s24 dst_sel:DWORD dst_unused:UNUSED_PAD src0_sel:WORD_0 src1_sel:DWORD
	v_mul_u32_u24_sdwa v46, v50, s24 dst_sel:DWORD dst_unused:UNUSED_PAD src0_sel:WORD_1 src1_sel:DWORD
	v_mul_u32_u24_sdwa v47, v51, s24 dst_sel:DWORD dst_unused:UNUSED_PAD src0_sel:WORD_0 src1_sel:DWORD
	v_mul_u32_u24_sdwa v48, v51, s24 dst_sel:DWORD dst_unused:UNUSED_PAD src0_sel:WORD_1 src1_sel:DWORD
	s_waitcnt lgkmcnt(0)
	v_pk_fma_f16 v31, v32, v38, v31
	v_pk_fma_f16 v29, v32, v46, v29
	;; [unrolled: 1-line block ×8, first 2 shown]
	v_mul_u32_u24_sdwa v33, v52, s24 dst_sel:DWORD dst_unused:UNUSED_PAD src0_sel:WORD_0 src1_sel:DWORD
	v_mul_u32_u24_sdwa v38, v52, s24 dst_sel:DWORD dst_unused:UNUSED_PAD src0_sel:WORD_1 src1_sel:DWORD
	v_mul_u32_u24_sdwa v45, v53, s24 dst_sel:DWORD dst_unused:UNUSED_PAD src0_sel:WORD_0 src1_sel:DWORD
	v_mul_u32_u24_sdwa v46, v53, s24 dst_sel:DWORD dst_unused:UNUSED_PAD src0_sel:WORD_1 src1_sel:DWORD
	v_pk_fma_f16 v31, v34, v33, v31
	v_pk_fma_f16 v29, v34, v38, v29
	;; [unrolled: 1-line block ×8, first 2 shown]
	ds_read2_b64 v[32:35], v36 offset0:128 offset1:160
	v_mul_u32_u24_sdwa v38, v54, s24 dst_sel:DWORD dst_unused:UNUSED_PAD src0_sel:WORD_0 src1_sel:DWORD
	v_mul_u32_u24_sdwa v45, v54, s24 dst_sel:DWORD dst_unused:UNUSED_PAD src0_sel:WORD_1 src1_sel:DWORD
	v_mul_u32_u24_sdwa v46, v55, s24 dst_sel:DWORD dst_unused:UNUSED_PAD src0_sel:WORD_0 src1_sel:DWORD
	v_mul_u32_u24_sdwa v48, v55, s24 dst_sel:DWORD dst_unused:UNUSED_PAD src0_sel:WORD_1 src1_sel:DWORD
	s_waitcnt lgkmcnt(0)
	v_pk_fma_f16 v31, v32, v38, v31
	v_pk_fma_f16 v29, v32, v45, v29
	;; [unrolled: 1-line block ×8, first 2 shown]
	v_mul_u32_u24_sdwa v33, v56, s24 dst_sel:DWORD dst_unused:UNUSED_PAD src0_sel:WORD_0 src1_sel:DWORD
	v_mul_u32_u24_sdwa v38, v56, s24 dst_sel:DWORD dst_unused:UNUSED_PAD src0_sel:WORD_1 src1_sel:DWORD
	v_mul_u32_u24_sdwa v45, v57, s24 dst_sel:DWORD dst_unused:UNUSED_PAD src0_sel:WORD_0 src1_sel:DWORD
	v_mul_u32_u24_sdwa v46, v57, s24 dst_sel:DWORD dst_unused:UNUSED_PAD src0_sel:WORD_1 src1_sel:DWORD
	v_pk_fma_f16 v31, v34, v33, v31
	v_pk_fma_f16 v29, v34, v38, v29
	;; [unrolled: 1-line block ×8, first 2 shown]
	ds_read2_b64 v[32:35], v36 offset0:192 offset1:224
	v_mul_u32_u24_sdwa v38, v58, s24 dst_sel:DWORD dst_unused:UNUSED_PAD src0_sel:WORD_0 src1_sel:DWORD
	v_mul_u32_u24_sdwa v45, v58, s24 dst_sel:DWORD dst_unused:UNUSED_PAD src0_sel:WORD_1 src1_sel:DWORD
	v_mul_u32_u24_sdwa v46, v59, s24 dst_sel:DWORD dst_unused:UNUSED_PAD src0_sel:WORD_0 src1_sel:DWORD
	v_mul_u32_u24_sdwa v48, v59, s24 dst_sel:DWORD dst_unused:UNUSED_PAD src0_sel:WORD_1 src1_sel:DWORD
	s_waitcnt lgkmcnt(0)
	v_pk_fma_f16 v31, v32, v38, v31
	v_pk_fma_f16 v29, v32, v45, v29
	;; [unrolled: 1-line block ×8, first 2 shown]
	v_mul_u32_u24_sdwa v38, v60, s24 dst_sel:DWORD dst_unused:UNUSED_PAD src0_sel:WORD_1 src1_sel:DWORD
	ds_read_b128 v[46:49], v25 offset:64
	v_mul_u32_u24_sdwa v33, v60, s24 dst_sel:DWORD dst_unused:UNUSED_PAD src0_sel:WORD_0 src1_sel:DWORD
	v_mul_u32_u24_sdwa v45, v61, s24 dst_sel:DWORD dst_unused:UNUSED_PAD src0_sel:WORD_0 src1_sel:DWORD
	v_mul_u32_u24_sdwa v50, v61, s24 dst_sel:DWORD dst_unused:UNUSED_PAD src0_sel:WORD_1 src1_sel:DWORD
	v_pk_fma_f16 v29, v34, v38, v29
	v_pk_fma_f16 v37, v35, v38, v37
	v_add_u32_e32 v38, 0x3800, v20
	v_pk_fma_f16 v31, v34, v33, v31
	v_pk_fma_f16 v22, v34, v45, v22
	;; [unrolled: 1-line block ×6, first 2 shown]
	ds_read2_b64 v[32:35], v38 offset1:32
	ds_read_b128 v[50:53], v25 offset:80
	s_waitcnt lgkmcnt(2)
	v_mul_u32_u24_sdwa v45, v46, s24 dst_sel:DWORD dst_unused:UNUSED_PAD src0_sel:WORD_0 src1_sel:DWORD
	v_mul_u32_u24_sdwa v46, v46, s24 dst_sel:DWORD dst_unused:UNUSED_PAD src0_sel:WORD_1 src1_sel:DWORD
	v_mul_u32_u24_sdwa v55, v47, s24 dst_sel:DWORD dst_unused:UNUSED_PAD src0_sel:WORD_0 src1_sel:DWORD
	v_mul_u32_u24_sdwa v47, v47, s24 dst_sel:DWORD dst_unused:UNUSED_PAD src0_sel:WORD_1 src1_sel:DWORD
	s_waitcnt lgkmcnt(1)
	v_pk_fma_f16 v31, v32, v45, v31
	v_pk_fma_f16 v29, v32, v46, v29
	;; [unrolled: 1-line block ×8, first 2 shown]
	v_lshl_add_u64 v[32:33], s[6:7], 2, v[16:17]
	v_mul_u32_u24_sdwa v74, v48, s24 dst_sel:DWORD dst_unused:UNUSED_PAD src0_sel:WORD_0 src1_sel:DWORD
	v_mul_u32_u24_sdwa v75, v48, s24 dst_sel:DWORD dst_unused:UNUSED_PAD src0_sel:WORD_1 src1_sel:DWORD
	v_mul_u32_u24_sdwa v76, v49, s24 dst_sel:DWORD dst_unused:UNUSED_PAD src0_sel:WORD_0 src1_sel:DWORD
	v_mul_u32_u24_sdwa v77, v49, s24 dst_sel:DWORD dst_unused:UNUSED_PAD src0_sel:WORD_1 src1_sel:DWORD
	ds_read2_b64 v[46:49], v38 offset0:64 offset1:96
	ds_read2_b64 v[54:57], v38 offset0:128 offset1:160
	;; [unrolled: 1-line block ×3, first 2 shown]
	ds_read_b128 v[62:65], v25 offset:96
	ds_read_b128 v[66:69], v25 offset:112
	s_waitcnt lgkmcnt(0)
	s_barrier
	global_load_dwordx4 v[70:73], v[32:33], off
	v_pk_fma_f16 v31, v34, v74, v31
	v_pk_fma_f16 v29, v34, v75, v29
	v_pk_fma_f16 v22, v34, v76, v22
	v_pk_fma_f16 v15, v34, v77, v15
	v_pk_fma_f16 v32, v35, v74, v45
	v_pk_fma_f16 v33, v35, v75, v37
	v_pk_fma_f16 v27, v35, v76, v27
	v_pk_fma_f16 v7, v35, v77, v7
	v_mul_u32_u24_sdwa v34, v50, s24 dst_sel:DWORD dst_unused:UNUSED_PAD src0_sel:WORD_0 src1_sel:DWORD
	v_mul_u32_u24_sdwa v35, v50, s24 dst_sel:DWORD dst_unused:UNUSED_PAD src0_sel:WORD_1 src1_sel:DWORD
	v_mul_u32_u24_sdwa v37, v51, s24 dst_sel:DWORD dst_unused:UNUSED_PAD src0_sel:WORD_0 src1_sel:DWORD
	v_mul_u32_u24_sdwa v45, v51, s24 dst_sel:DWORD dst_unused:UNUSED_PAD src0_sel:WORD_1 src1_sel:DWORD
	v_pk_fma_f16 v31, v46, v34, v31
	v_pk_fma_f16 v29, v46, v35, v29
	v_pk_fma_f16 v22, v46, v37, v22
	v_pk_fma_f16 v15, v46, v45, v15
	v_pk_fma_f16 v32, v47, v34, v32
	v_pk_fma_f16 v33, v47, v35, v33
	v_pk_fma_f16 v27, v47, v37, v27
	v_pk_fma_f16 v7, v47, v45, v7
	v_mul_u32_u24_sdwa v34, v52, s24 dst_sel:DWORD dst_unused:UNUSED_PAD src0_sel:WORD_0 src1_sel:DWORD
	v_mul_u32_u24_sdwa v35, v52, s24 dst_sel:DWORD dst_unused:UNUSED_PAD src0_sel:WORD_1 src1_sel:DWORD
	v_mul_u32_u24_sdwa v37, v53, s24 dst_sel:DWORD dst_unused:UNUSED_PAD src0_sel:WORD_0 src1_sel:DWORD
	v_mul_u32_u24_sdwa v45, v53, s24 dst_sel:DWORD dst_unused:UNUSED_PAD src0_sel:WORD_1 src1_sel:DWORD
	;; [unrolled: 12-line block ×6, first 2 shown]
	v_pk_fma_f16 v31, v60, v34, v31
	v_pk_fma_f16 v29, v60, v35, v29
	;; [unrolled: 1-line block ×8, first 2 shown]
	s_waitcnt vmcnt(0)
	ds_write_b128 v26, v[70:73]
	s_waitcnt lgkmcnt(0)
	s_barrier
	ds_read_b128 v[32:35], v25 offset:128
	ds_read2_b64 v[46:49], v36 offset1:32
	ds_read_b128 v[50:53], v25 offset:144
	ds_read_b128 v[54:57], v25 offset:160
	;; [unrolled: 1-line block ×3, first 2 shown]
	s_waitcnt lgkmcnt(4)
	v_mul_u32_u24_sdwa v37, v32, s24 dst_sel:DWORD dst_unused:UNUSED_PAD src0_sel:WORD_0 src1_sel:DWORD
	v_mul_u32_u24_sdwa v32, v32, s24 dst_sel:DWORD dst_unused:UNUSED_PAD src0_sel:WORD_1 src1_sel:DWORD
	v_mul_u32_u24_sdwa v45, v33, s24 dst_sel:DWORD dst_unused:UNUSED_PAD src0_sel:WORD_0 src1_sel:DWORD
	v_mul_u32_u24_sdwa v33, v33, s24 dst_sel:DWORD dst_unused:UNUSED_PAD src0_sel:WORD_1 src1_sel:DWORD
	s_waitcnt lgkmcnt(3)
	v_pk_fma_f16 v31, v46, v37, v31
	v_pk_fma_f16 v29, v46, v32, v29
	;; [unrolled: 1-line block ×8, first 2 shown]
	v_mul_u32_u24_sdwa v33, v34, s24 dst_sel:DWORD dst_unused:UNUSED_PAD src0_sel:WORD_0 src1_sel:DWORD
	v_mul_u32_u24_sdwa v34, v34, s24 dst_sel:DWORD dst_unused:UNUSED_PAD src0_sel:WORD_1 src1_sel:DWORD
	v_mul_u32_u24_sdwa v45, v35, s24 dst_sel:DWORD dst_unused:UNUSED_PAD src0_sel:WORD_0 src1_sel:DWORD
	v_mul_u32_u24_sdwa v35, v35, s24 dst_sel:DWORD dst_unused:UNUSED_PAD src0_sel:WORD_1 src1_sel:DWORD
	v_pk_fma_f16 v31, v48, v33, v31
	v_pk_fma_f16 v29, v48, v34, v29
	;; [unrolled: 1-line block ×6, first 2 shown]
	ds_read2_b64 v[32:35], v36 offset0:64 offset1:96
	v_pk_fma_f16 v22, v48, v45, v22
	v_pk_fma_f16 v27, v49, v45, v27
	s_waitcnt lgkmcnt(3)
	v_mul_u32_u24_sdwa v45, v50, s24 dst_sel:DWORD dst_unused:UNUSED_PAD src0_sel:WORD_0 src1_sel:DWORD
	v_mul_u32_u24_sdwa v47, v50, s24 dst_sel:DWORD dst_unused:UNUSED_PAD src0_sel:WORD_1 src1_sel:DWORD
	v_mul_u32_u24_sdwa v48, v51, s24 dst_sel:DWORD dst_unused:UNUSED_PAD src0_sel:WORD_0 src1_sel:DWORD
	v_mul_u32_u24_sdwa v49, v51, s24 dst_sel:DWORD dst_unused:UNUSED_PAD src0_sel:WORD_1 src1_sel:DWORD
	s_waitcnt lgkmcnt(0)
	v_pk_fma_f16 v31, v32, v45, v31
	v_pk_fma_f16 v29, v32, v47, v29
	;; [unrolled: 1-line block ×8, first 2 shown]
	v_mul_u32_u24_sdwa v33, v52, s24 dst_sel:DWORD dst_unused:UNUSED_PAD src0_sel:WORD_0 src1_sel:DWORD
	v_mul_u32_u24_sdwa v45, v52, s24 dst_sel:DWORD dst_unused:UNUSED_PAD src0_sel:WORD_1 src1_sel:DWORD
	v_mul_u32_u24_sdwa v46, v53, s24 dst_sel:DWORD dst_unused:UNUSED_PAD src0_sel:WORD_0 src1_sel:DWORD
	v_mul_u32_u24_sdwa v47, v53, s24 dst_sel:DWORD dst_unused:UNUSED_PAD src0_sel:WORD_1 src1_sel:DWORD
	v_pk_fma_f16 v31, v34, v33, v31
	v_pk_fma_f16 v29, v34, v45, v29
	;; [unrolled: 1-line block ×8, first 2 shown]
	ds_read2_b64 v[32:35], v36 offset0:128 offset1:160
	v_mul_u32_u24_sdwa v45, v54, s24 dst_sel:DWORD dst_unused:UNUSED_PAD src0_sel:WORD_0 src1_sel:DWORD
	v_mul_u32_u24_sdwa v46, v54, s24 dst_sel:DWORD dst_unused:UNUSED_PAD src0_sel:WORD_1 src1_sel:DWORD
	v_mul_u32_u24_sdwa v47, v55, s24 dst_sel:DWORD dst_unused:UNUSED_PAD src0_sel:WORD_0 src1_sel:DWORD
	v_mul_u32_u24_sdwa v49, v55, s24 dst_sel:DWORD dst_unused:UNUSED_PAD src0_sel:WORD_1 src1_sel:DWORD
	s_waitcnt lgkmcnt(0)
	v_pk_fma_f16 v31, v32, v45, v31
	v_pk_fma_f16 v29, v32, v46, v29
	;; [unrolled: 1-line block ×8, first 2 shown]
	v_mul_u32_u24_sdwa v33, v56, s24 dst_sel:DWORD dst_unused:UNUSED_PAD src0_sel:WORD_0 src1_sel:DWORD
	v_mul_u32_u24_sdwa v45, v56, s24 dst_sel:DWORD dst_unused:UNUSED_PAD src0_sel:WORD_1 src1_sel:DWORD
	v_mul_u32_u24_sdwa v46, v57, s24 dst_sel:DWORD dst_unused:UNUSED_PAD src0_sel:WORD_0 src1_sel:DWORD
	v_mul_u32_u24_sdwa v47, v57, s24 dst_sel:DWORD dst_unused:UNUSED_PAD src0_sel:WORD_1 src1_sel:DWORD
	v_pk_fma_f16 v31, v34, v33, v31
	v_pk_fma_f16 v29, v34, v45, v29
	;; [unrolled: 1-line block ×8, first 2 shown]
	ds_read2_b64 v[32:35], v36 offset0:192 offset1:224
	v_mul_u32_u24_sdwa v36, v58, s24 dst_sel:DWORD dst_unused:UNUSED_PAD src0_sel:WORD_0 src1_sel:DWORD
	v_mul_u32_u24_sdwa v45, v58, s24 dst_sel:DWORD dst_unused:UNUSED_PAD src0_sel:WORD_1 src1_sel:DWORD
	v_mul_u32_u24_sdwa v46, v59, s24 dst_sel:DWORD dst_unused:UNUSED_PAD src0_sel:WORD_0 src1_sel:DWORD
	v_mul_u32_u24_sdwa v47, v59, s24 dst_sel:DWORD dst_unused:UNUSED_PAD src0_sel:WORD_1 src1_sel:DWORD
	s_waitcnt lgkmcnt(0)
	v_pk_fma_f16 v31, v32, v36, v31
	v_pk_fma_f16 v29, v32, v45, v29
	;; [unrolled: 1-line block ×7, first 2 shown]
	ds_read_b128 v[46:49], v25 offset:192
	v_pk_fma_f16 v36, v33, v45, v37
	v_mul_u32_u24_sdwa v33, v60, s24 dst_sel:DWORD dst_unused:UNUSED_PAD src0_sel:WORD_0 src1_sel:DWORD
	v_mul_u32_u24_sdwa v37, v60, s24 dst_sel:DWORD dst_unused:UNUSED_PAD src0_sel:WORD_1 src1_sel:DWORD
	v_mul_u32_u24_sdwa v45, v61, s24 dst_sel:DWORD dst_unused:UNUSED_PAD src0_sel:WORD_0 src1_sel:DWORD
	v_mul_u32_u24_sdwa v50, v61, s24 dst_sel:DWORD dst_unused:UNUSED_PAD src0_sel:WORD_1 src1_sel:DWORD
	v_pk_fma_f16 v31, v34, v33, v31
	v_pk_fma_f16 v29, v34, v37, v29
	;; [unrolled: 1-line block ×8, first 2 shown]
	ds_read2_b64 v[32:35], v38 offset1:32
	ds_read_b128 v[50:53], v25 offset:208
	s_waitcnt lgkmcnt(2)
	v_mul_u32_u24_sdwa v37, v46, s24 dst_sel:DWORD dst_unused:UNUSED_PAD src0_sel:WORD_0 src1_sel:DWORD
	v_mul_u32_u24_sdwa v45, v46, s24 dst_sel:DWORD dst_unused:UNUSED_PAD src0_sel:WORD_1 src1_sel:DWORD
	v_mul_u32_u24_sdwa v46, v47, s24 dst_sel:DWORD dst_unused:UNUSED_PAD src0_sel:WORD_0 src1_sel:DWORD
	v_mul_u32_u24_sdwa v47, v47, s24 dst_sel:DWORD dst_unused:UNUSED_PAD src0_sel:WORD_1 src1_sel:DWORD
	s_waitcnt lgkmcnt(1)
	v_pk_fma_f16 v31, v32, v37, v31
	v_pk_fma_f16 v29, v32, v45, v29
	v_pk_fma_f16 v22, v32, v46, v22
	v_pk_fma_f16 v15, v32, v47, v15
	v_pk_fma_f16 v32, v33, v37, v54
	v_pk_fma_f16 v36, v33, v45, v36
	v_pk_fma_f16 v27, v33, v46, v27
	v_pk_fma_f16 v7, v33, v47, v7
	v_mul_u32_u24_sdwa v33, v48, s24 dst_sel:DWORD dst_unused:UNUSED_PAD src0_sel:WORD_0 src1_sel:DWORD
	v_mul_u32_u24_sdwa v37, v48, s24 dst_sel:DWORD dst_unused:UNUSED_PAD src0_sel:WORD_1 src1_sel:DWORD
	v_mul_u32_u24_sdwa v45, v49, s24 dst_sel:DWORD dst_unused:UNUSED_PAD src0_sel:WORD_0 src1_sel:DWORD
	v_mul_u32_u24_sdwa v46, v49, s24 dst_sel:DWORD dst_unused:UNUSED_PAD src0_sel:WORD_1 src1_sel:DWORD
	v_pk_fma_f16 v31, v34, v33, v31
	v_pk_fma_f16 v29, v34, v37, v29
	;; [unrolled: 1-line block ×8, first 2 shown]
	ds_read2_b64 v[32:35], v38 offset0:64 offset1:96
	s_waitcnt lgkmcnt(1)
	v_mul_u32_u24_sdwa v37, v50, s24 dst_sel:DWORD dst_unused:UNUSED_PAD src0_sel:WORD_0 src1_sel:DWORD
	v_mul_u32_u24_sdwa v45, v50, s24 dst_sel:DWORD dst_unused:UNUSED_PAD src0_sel:WORD_1 src1_sel:DWORD
	v_mul_u32_u24_sdwa v46, v51, s24 dst_sel:DWORD dst_unused:UNUSED_PAD src0_sel:WORD_0 src1_sel:DWORD
	v_mul_u32_u24_sdwa v48, v51, s24 dst_sel:DWORD dst_unused:UNUSED_PAD src0_sel:WORD_1 src1_sel:DWORD
	s_waitcnt lgkmcnt(0)
	v_pk_fma_f16 v31, v32, v37, v31
	v_pk_fma_f16 v29, v32, v45, v29
	;; [unrolled: 1-line block ×7, first 2 shown]
	ds_read_b128 v[46:49], v25 offset:224
	v_pk_fma_f16 v36, v33, v45, v36
	v_mul_u32_u24_sdwa v33, v52, s24 dst_sel:DWORD dst_unused:UNUSED_PAD src0_sel:WORD_0 src1_sel:DWORD
	v_mul_u32_u24_sdwa v37, v52, s24 dst_sel:DWORD dst_unused:UNUSED_PAD src0_sel:WORD_1 src1_sel:DWORD
	v_mul_u32_u24_sdwa v45, v53, s24 dst_sel:DWORD dst_unused:UNUSED_PAD src0_sel:WORD_0 src1_sel:DWORD
	v_mul_u32_u24_sdwa v50, v53, s24 dst_sel:DWORD dst_unused:UNUSED_PAD src0_sel:WORD_1 src1_sel:DWORD
	v_pk_fma_f16 v31, v34, v33, v31
	v_pk_fma_f16 v29, v34, v37, v29
	;; [unrolled: 1-line block ×8, first 2 shown]
	ds_read2_b64 v[32:35], v38 offset0:128 offset1:160
	ds_read_b128 v[50:53], v25 offset:240
	s_waitcnt lgkmcnt(2)
	v_mul_u32_u24_sdwa v37, v46, s24 dst_sel:DWORD dst_unused:UNUSED_PAD src0_sel:WORD_0 src1_sel:DWORD
	v_mul_u32_u24_sdwa v45, v46, s24 dst_sel:DWORD dst_unused:UNUSED_PAD src0_sel:WORD_1 src1_sel:DWORD
	v_mul_u32_u24_sdwa v46, v47, s24 dst_sel:DWORD dst_unused:UNUSED_PAD src0_sel:WORD_0 src1_sel:DWORD
	v_mul_u32_u24_sdwa v47, v47, s24 dst_sel:DWORD dst_unused:UNUSED_PAD src0_sel:WORD_1 src1_sel:DWORD
	s_waitcnt lgkmcnt(1)
	v_pk_fma_f16 v31, v32, v37, v31
	v_pk_fma_f16 v29, v32, v45, v29
	;; [unrolled: 1-line block ×8, first 2 shown]
	v_mul_u32_u24_sdwa v33, v48, s24 dst_sel:DWORD dst_unused:UNUSED_PAD src0_sel:WORD_0 src1_sel:DWORD
	v_mul_u32_u24_sdwa v37, v48, s24 dst_sel:DWORD dst_unused:UNUSED_PAD src0_sel:WORD_1 src1_sel:DWORD
	v_mul_u32_u24_sdwa v45, v49, s24 dst_sel:DWORD dst_unused:UNUSED_PAD src0_sel:WORD_0 src1_sel:DWORD
	v_mul_u32_u24_sdwa v46, v49, s24 dst_sel:DWORD dst_unused:UNUSED_PAD src0_sel:WORD_1 src1_sel:DWORD
	v_pk_fma_f16 v31, v34, v33, v31
	v_pk_fma_f16 v29, v34, v37, v29
	;; [unrolled: 1-line block ×8, first 2 shown]
	ds_read2_b64 v[32:35], v38 offset0:192 offset1:224
	s_waitcnt lgkmcnt(0)
	s_barrier
	s_load_dword s6, s[4:5], 0x4
	v_mul_u32_u24_sdwa v37, v50, s24 dst_sel:DWORD dst_unused:UNUSED_PAD src0_sel:WORD_0 src1_sel:DWORD
	v_mul_u32_u24_sdwa v38, v50, s24 dst_sel:DWORD dst_unused:UNUSED_PAD src0_sel:WORD_1 src1_sel:DWORD
	v_mul_u32_u24_sdwa v45, v51, s24 dst_sel:DWORD dst_unused:UNUSED_PAD src0_sel:WORD_0 src1_sel:DWORD
	v_mul_u32_u24_sdwa v46, v51, s24 dst_sel:DWORD dst_unused:UNUSED_PAD src0_sel:WORD_1 src1_sel:DWORD
	s_waitcnt lgkmcnt(0)
	s_lshl_b32 s6, s6, 5
	v_pk_fma_f16 v31, v32, v37, v31
	v_pk_fma_f16 v29, v32, v38, v29
	;; [unrolled: 1-line block ×8, first 2 shown]
	v_mul_u32_u24_sdwa v33, v52, s24 dst_sel:DWORD dst_unused:UNUSED_PAD src0_sel:WORD_0 src1_sel:DWORD
	v_mul_u32_u24_sdwa v37, v52, s24 dst_sel:DWORD dst_unused:UNUSED_PAD src0_sel:WORD_1 src1_sel:DWORD
	v_mul_u32_u24_sdwa v38, v53, s24 dst_sel:DWORD dst_unused:UNUSED_PAD src0_sel:WORD_0 src1_sel:DWORD
	v_mul_u32_u24_sdwa v45, v53, s24 dst_sel:DWORD dst_unused:UNUSED_PAD src0_sel:WORD_1 src1_sel:DWORD
	s_add_i32 s2, s6, s2
	v_pk_fma_f16 v31, v34, v33, v31
	v_pk_fma_f16 v29, v34, v37, v29
	;; [unrolled: 1-line block ×7, first 2 shown]
	s_cmp_ge_i32 s2, s28
	v_pk_fma_f16 v7, v35, v45, v7
	s_cbranch_scc1 .LBB19_15
; %bb.54:                               ;   in Loop: Header=BB19_37 Depth=1
	v_mov_b32_e32 v37, v0
	v_mov_b32_e32 v36, v1
	;; [unrolled: 1-line block ×4, first 2 shown]
	s_branch .LBB19_37
	.section	.rodata,"a",@progbits
	.p2align	6, 0x0
	.amdhsa_kernel _ZL15flash_attn_tileILi192ELi128ELi2ELi16ELb1EEvPKcS1_S1_S1_S1_PKiPfP15HIP_vector_typeIfLj2EEffffjfiS5_IjLj3EEiiiiiiiiiiiliiliiiiil
		.amdhsa_group_segment_fixed_size 18944
		.amdhsa_private_segment_fixed_size 0
		.amdhsa_kernarg_size 464
		.amdhsa_user_sgpr_count 2
		.amdhsa_user_sgpr_dispatch_ptr 0
		.amdhsa_user_sgpr_queue_ptr 0
		.amdhsa_user_sgpr_kernarg_segment_ptr 1
		.amdhsa_user_sgpr_dispatch_id 0
		.amdhsa_user_sgpr_kernarg_preload_length 0
		.amdhsa_user_sgpr_kernarg_preload_offset 0
		.amdhsa_user_sgpr_private_segment_size 0
		.amdhsa_uses_dynamic_stack 0
		.amdhsa_enable_private_segment 0
		.amdhsa_system_sgpr_workgroup_id_x 1
		.amdhsa_system_sgpr_workgroup_id_y 1
		.amdhsa_system_sgpr_workgroup_id_z 1
		.amdhsa_system_sgpr_workgroup_info 0
		.amdhsa_system_vgpr_workitem_id 1
		.amdhsa_next_free_vgpr 78
		.amdhsa_next_free_sgpr 44
		.amdhsa_accum_offset 80
		.amdhsa_reserve_vcc 1
		.amdhsa_float_round_mode_32 0
		.amdhsa_float_round_mode_16_64 0
		.amdhsa_float_denorm_mode_32 3
		.amdhsa_float_denorm_mode_16_64 3
		.amdhsa_dx10_clamp 1
		.amdhsa_ieee_mode 1
		.amdhsa_fp16_overflow 0
		.amdhsa_tg_split 0
		.amdhsa_exception_fp_ieee_invalid_op 0
		.amdhsa_exception_fp_denorm_src 0
		.amdhsa_exception_fp_ieee_div_zero 0
		.amdhsa_exception_fp_ieee_overflow 0
		.amdhsa_exception_fp_ieee_underflow 0
		.amdhsa_exception_fp_ieee_inexact 0
		.amdhsa_exception_int_div_zero 0
	.end_amdhsa_kernel
	.section	.text._ZL15flash_attn_tileILi192ELi128ELi2ELi16ELb1EEvPKcS1_S1_S1_S1_PKiPfP15HIP_vector_typeIfLj2EEffffjfiS5_IjLj3EEiiiiiiiiiiiliiliiiiil,"axG",@progbits,_ZL15flash_attn_tileILi192ELi128ELi2ELi16ELb1EEvPKcS1_S1_S1_S1_PKiPfP15HIP_vector_typeIfLj2EEffffjfiS5_IjLj3EEiiiiiiiiiiiliiliiiiil,comdat
.Lfunc_end19:
	.size	_ZL15flash_attn_tileILi192ELi128ELi2ELi16ELb1EEvPKcS1_S1_S1_S1_PKiPfP15HIP_vector_typeIfLj2EEffffjfiS5_IjLj3EEiiiiiiiiiiiliiliiiiil, .Lfunc_end19-_ZL15flash_attn_tileILi192ELi128ELi2ELi16ELb1EEvPKcS1_S1_S1_S1_PKiPfP15HIP_vector_typeIfLj2EEffffjfiS5_IjLj3EEiiiiiiiiiiiliiliiiiil
                                        ; -- End function
	.set _ZL15flash_attn_tileILi192ELi128ELi2ELi16ELb1EEvPKcS1_S1_S1_S1_PKiPfP15HIP_vector_typeIfLj2EEffffjfiS5_IjLj3EEiiiiiiiiiiiliiliiiiil.num_vgpr, 78
	.set _ZL15flash_attn_tileILi192ELi128ELi2ELi16ELb1EEvPKcS1_S1_S1_S1_PKiPfP15HIP_vector_typeIfLj2EEffffjfiS5_IjLj3EEiiiiiiiiiiiliiliiiiil.num_agpr, 0
	.set _ZL15flash_attn_tileILi192ELi128ELi2ELi16ELb1EEvPKcS1_S1_S1_S1_PKiPfP15HIP_vector_typeIfLj2EEffffjfiS5_IjLj3EEiiiiiiiiiiiliiliiiiil.numbered_sgpr, 44
	.set _ZL15flash_attn_tileILi192ELi128ELi2ELi16ELb1EEvPKcS1_S1_S1_S1_PKiPfP15HIP_vector_typeIfLj2EEffffjfiS5_IjLj3EEiiiiiiiiiiiliiliiiiil.num_named_barrier, 0
	.set _ZL15flash_attn_tileILi192ELi128ELi2ELi16ELb1EEvPKcS1_S1_S1_S1_PKiPfP15HIP_vector_typeIfLj2EEffffjfiS5_IjLj3EEiiiiiiiiiiiliiliiiiil.private_seg_size, 0
	.set _ZL15flash_attn_tileILi192ELi128ELi2ELi16ELb1EEvPKcS1_S1_S1_S1_PKiPfP15HIP_vector_typeIfLj2EEffffjfiS5_IjLj3EEiiiiiiiiiiiliiliiiiil.uses_vcc, 1
	.set _ZL15flash_attn_tileILi192ELi128ELi2ELi16ELb1EEvPKcS1_S1_S1_S1_PKiPfP15HIP_vector_typeIfLj2EEffffjfiS5_IjLj3EEiiiiiiiiiiiliiliiiiil.uses_flat_scratch, 0
	.set _ZL15flash_attn_tileILi192ELi128ELi2ELi16ELb1EEvPKcS1_S1_S1_S1_PKiPfP15HIP_vector_typeIfLj2EEffffjfiS5_IjLj3EEiiiiiiiiiiiliiliiiiil.has_dyn_sized_stack, 0
	.set _ZL15flash_attn_tileILi192ELi128ELi2ELi16ELb1EEvPKcS1_S1_S1_S1_PKiPfP15HIP_vector_typeIfLj2EEffffjfiS5_IjLj3EEiiiiiiiiiiiliiliiiiil.has_recursion, 0
	.set _ZL15flash_attn_tileILi192ELi128ELi2ELi16ELb1EEvPKcS1_S1_S1_S1_PKiPfP15HIP_vector_typeIfLj2EEffffjfiS5_IjLj3EEiiiiiiiiiiiliiliiiiil.has_indirect_call, 0
	.section	.AMDGPU.csdata,"",@progbits
; Kernel info:
; codeLenInByte = 19104
; TotalNumSgprs: 50
; NumVgprs: 78
; NumAgprs: 0
; TotalNumVgprs: 78
; ScratchSize: 0
; MemoryBound: 0
; FloatMode: 240
; IeeeMode: 1
; LDSByteSize: 18944 bytes/workgroup (compile time only)
; SGPRBlocks: 6
; VGPRBlocks: 9
; NumSGPRsForWavesPerEU: 50
; NumVGPRsForWavesPerEU: 78
; AccumOffset: 80
; Occupancy: 6
; WaveLimiterHint : 1
; COMPUTE_PGM_RSRC2:SCRATCH_EN: 0
; COMPUTE_PGM_RSRC2:USER_SGPR: 2
; COMPUTE_PGM_RSRC2:TRAP_HANDLER: 0
; COMPUTE_PGM_RSRC2:TGID_X_EN: 1
; COMPUTE_PGM_RSRC2:TGID_Y_EN: 1
; COMPUTE_PGM_RSRC2:TGID_Z_EN: 1
; COMPUTE_PGM_RSRC2:TIDIG_COMP_CNT: 1
; COMPUTE_PGM_RSRC3_GFX90A:ACCUM_OFFSET: 19
; COMPUTE_PGM_RSRC3_GFX90A:TG_SPLIT: 0
	.section	.text._ZL15flash_attn_tileILi192ELi128ELi1ELi16ELb1EEvPKcS1_S1_S1_S1_PKiPfP15HIP_vector_typeIfLj2EEffffjfiS5_IjLj3EEiiiiiiiiiiiliiliiiiil,"axG",@progbits,_ZL15flash_attn_tileILi192ELi128ELi1ELi16ELb1EEvPKcS1_S1_S1_S1_PKiPfP15HIP_vector_typeIfLj2EEffffjfiS5_IjLj3EEiiiiiiiiiiiliiliiiiil,comdat
	.globl	_ZL15flash_attn_tileILi192ELi128ELi1ELi16ELb1EEvPKcS1_S1_S1_S1_PKiPfP15HIP_vector_typeIfLj2EEffffjfiS5_IjLj3EEiiiiiiiiiiiliiliiiiil ; -- Begin function _ZL15flash_attn_tileILi192ELi128ELi1ELi16ELb1EEvPKcS1_S1_S1_S1_PKiPfP15HIP_vector_typeIfLj2EEffffjfiS5_IjLj3EEiiiiiiiiiiiliiliiiiil
	.p2align	8
	.type	_ZL15flash_attn_tileILi192ELi128ELi1ELi16ELb1EEvPKcS1_S1_S1_S1_PKiPfP15HIP_vector_typeIfLj2EEffffjfiS5_IjLj3EEiiiiiiiiiiiliiliiiiil,@function
_ZL15flash_attn_tileILi192ELi128ELi1ELi16ELb1EEvPKcS1_S1_S1_S1_PKiPfP15HIP_vector_typeIfLj2EEffffjfiS5_IjLj3EEiiiiiiiiiiiliiliiiiil: ; @_ZL15flash_attn_tileILi192ELi128ELi1ELi16ELb1EEvPKcS1_S1_S1_S1_PKiPfP15HIP_vector_typeIfLj2EEffffjfiS5_IjLj3EEiiiiiiiiiiiliiliiiiil
; %bb.0:
	s_load_dwordx4 s[20:23], s[0:1], 0x5c
	s_load_dwordx2 s[28:29], s[0:1], 0x80
	s_load_dwordx2 s[34:35], s[0:1], 0xb8
	s_mov_b64 s[30:31], 0
	s_waitcnt lgkmcnt(0)
	s_ashr_i32 s5, s23, 31
	s_lshr_b32 s5, s5, 28
	s_add_i32 s5, s23, s5
	s_ashr_i32 s5, s5, 4
	v_cvt_f32_u32_e32 v1, s5
	s_sub_i32 s6, 0, s5
	v_rcp_iflag_f32_e32 v1, v1
	s_nop 0
	v_mul_f32_e32 v1, 0x4f7ffffe, v1
	v_cvt_u32_f32_e32 v1, v1
	s_nop 0
	v_readfirstlane_b32 s7, v1
	s_mul_i32 s6, s6, s7
	s_mul_hi_u32 s6, s7, s6
	s_add_i32 s7, s7, s6
	s_mul_hi_u32 s6, s4, s7
	s_mul_i32 s7, s6, s5
	s_sub_i32 s7, s4, s7
	s_add_i32 s8, s6, 1
	s_sub_i32 s9, s7, s5
	s_cmp_ge_u32 s7, s5
	s_cselect_b32 s6, s8, s6
	s_cselect_b32 s7, s9, s7
	s_add_i32 s8, s6, 1
	s_cmp_ge_u32 s7, s5
	s_cselect_b32 s33, s8, s6
	s_abs_i32 s5, s29
	v_cvt_f32_u32_e32 v1, s5
	s_lshl_b32 s4, s4, 4
	s_mul_i32 s8, s33, s23
	s_xor_b32 s6, s23, s29
	v_rcp_iflag_f32_e32 v1, v1
	s_sub_i32 s9, 0, s5
	s_sub_i32 s29, s4, s8
	s_abs_i32 s7, s23
	v_mul_f32_e32 v1, 0x4f7ffffe, v1
	v_cvt_u32_f32_e32 v1, v1
	s_ashr_i32 s6, s6, 31
	v_readfirstlane_b32 s4, v1
	s_mul_i32 s9, s9, s4
	s_mul_hi_u32 s8, s4, s9
	s_add_i32 s4, s4, s8
	s_mul_hi_u32 s4, s7, s4
	s_mul_i32 s8, s4, s5
	s_sub_i32 s7, s7, s8
	s_add_i32 s9, s4, 1
	s_sub_i32 s8, s7, s5
	s_cmp_ge_u32 s7, s5
	s_cselect_b32 s4, s9, s4
	s_cselect_b32 s7, s8, s7
	s_add_i32 s8, s4, 1
	s_cmp_ge_u32 s7, s5
	s_cselect_b32 s4, s8, s4
	s_xor_b32 s4, s4, s6
	s_sub_i32 s37, s4, s6
	s_abs_i32 s36, s37
	v_cvt_f32_u32_e32 v1, s36
	s_load_dwordx16 s[4:19], s[0:1], 0x0
	v_rcp_iflag_f32_e32 v1, v1
	s_waitcnt lgkmcnt(0)
	s_cmp_eq_u64 s[10:11], 0
	v_mul_f32_e32 v1, 0x4f7ffffe, v1
	v_cvt_u32_f32_e32 v1, v1
	s_nop 0
	v_readfirstlane_b32 s24, v1
	s_cbranch_scc1 .LBB20_2
; %bb.1:
	s_abs_i32 s25, s34
	v_cvt_f32_u32_e32 v1, s25
	s_sub_i32 s34, 0, s25
	s_abs_i32 s31, s33
	s_ashr_i32 s30, s33, 31
	v_rcp_iflag_f32_e32 v1, v1
	s_load_dwordx2 s[26:27], s[0:1], 0xc8
	v_mul_f32_e32 v1, 0x4f7ffffe, v1
	v_cvt_u32_f32_e32 v1, v1
	s_nop 0
	v_readfirstlane_b32 s38, v1
	s_mul_i32 s34, s34, s38
	s_mul_hi_u32 s34, s38, s34
	s_add_i32 s38, s38, s34
	s_mul_hi_u32 s34, s31, s38
	s_mul_i32 s34, s34, s25
	s_sub_i32 s31, s31, s34
	s_sub_i32 s34, s31, s25
	s_cmp_ge_u32 s31, s25
	s_cselect_b32 s31, s34, s31
	s_sub_i32 s34, s31, s25
	s_cmp_ge_u32 s31, s25
	s_cselect_b32 s25, s34, s31
	s_xor_b32 s25, s25, s30
	s_sub_i32 s25, s25, s30
	s_ashr_i32 s30, s25, 31
	s_waitcnt lgkmcnt(0)
	s_mul_hi_u32 s31, s26, s25
	s_mul_i32 s30, s26, s30
	s_mul_i32 s27, s27, s25
	s_add_i32 s30, s31, s30
	s_add_i32 s27, s30, s27
	s_mul_i32 s25, s26, s25
	s_add_u32 s30, s10, s25
	s_addc_u32 s31, s11, s27
.LBB20_2:
	s_load_dwordx4 s[40:43], s[0:1], 0x70
	v_lshrrev_b32_e32 v1, 10, v0
	v_bfe_u32 v1, v1, 3, 7
	v_add_u32_e32 v1, s2, v1
	v_mul_hi_u32 v2, s20, v1
	s_waitcnt lgkmcnt(0)
	s_mul_i32 s10, s33, s42
	s_ashr_i32 s25, s10, 31
	s_mul_i32 s11, s29, s41
	s_add_u32 s4, s4, s10
	s_addc_u32 s5, s5, s25
	s_ashr_i32 s10, s11, 31
	v_add_u32_e32 v2, v1, v2
	s_add_u32 s4, s4, s11
	v_lshrrev_b32_e32 v2, s21, v2
	s_addc_u32 s5, s5, s10
	s_ashr_i32 s27, s41, 31
	s_mov_b32 s26, s41
	v_mul_lo_u32 v2, v2, s22
	s_ashr_i32 s41, s40, 31
	v_sub_u32_e32 v8, v1, v2
	s_lshr_b64 s[20:21], s[40:41], 2
	v_mad_u64_u32 v[2:3], s[20:21], s20, v8, 0
	v_mov_b32_e32 v4, v3
	s_lshr_b32 s20, s41, 2
	v_bfe_u32 v11, v0, 10, 10
	v_mad_u64_u32 v[4:5], s[20:21], s20, v8, v[4:5]
	v_lshlrev_b32_e32 v10, 1, v11
	v_and_b32_e32 v0, 0x3ff, v0
	v_mov_b32_e32 v3, v4
	s_lshr_b64 s[10:11], s[26:27], 2
	v_lshl_add_u64 v[2:3], v[2:3], 2, s[4:5]
	v_lshlrev_b32_e32 v4, 4, v0
	v_mov_b32_e32 v5, 0
	v_and_b32_e32 v15, 14, v10
	v_lshl_add_u64 v[2:3], v[2:3], 0, v[4:5]
	v_mad_u64_u32 v[4:5], s[4:5], s10, v15, 0
	v_mov_b32_e32 v6, v5
	s_lshr_b32 s4, s27, 2
	v_mad_u64_u32 v[6:7], s[4:5], s4, v15, v[6:7]
	v_mov_b32_e32 v5, v6
	v_lshl_add_u64 v[4:5], v[4:5], 2, v[2:3]
	global_load_dwordx4 v[18:21], v[4:5], off
	s_load_dword s4, s[0:1], 0x40
	s_movk_i32 s5, 0x300
	v_lshlrev_b32_e32 v16, 3, v0
	v_mad_u32_u24 v9, v11, s5, v16
	v_mul_u32_u24_e32 v17, 0x300, v11
	s_waitcnt lgkmcnt(0)
	s_mov_b32 s5, s4
	v_cmp_gt_u32_e32 vcc, 16, v0
	s_waitcnt vmcnt(0)
	v_fma_mixlo_f16 v6, s4, v18, 0
	v_fma_mixlo_f16 v7, s4, v20, 0
	v_mov_b32_e32 v18, v21
	v_and_b32_e32 v12, 0xffff, v6
	v_and_b32_e32 v13, 0xffff, v7
	v_pk_mul_f32 v[6:7], s[4:5], v[18:19] op_sel_hi:[0,1]
	v_cvt_pk_f16_f32 v6, v6, v7
	v_lshlrev_b32_e32 v7, 16, v6
	v_and_b32_e32 v6, 0xffff0000, v6
	v_or_b32_e32 v6, v6, v12
	v_or3_b32 v7, v7, v13, 0
	v_or3_b32 v6, 0, 0, v6
	ds_write_b64 v9, v[6:7]
	s_and_saveexec_b64 s[20:21], vcc
	s_cbranch_execz .LBB20_4
; %bb.3:
	global_load_dwordx4 v[4:7], v[4:5], off offset:512
	s_waitcnt vmcnt(0)
	v_fma_mixlo_f16 v9, s4, v4, 0
	v_mov_b32_e32 v4, v7
	v_pk_mul_f32 v[4:5], s[4:5], v[4:5]
	v_fma_mixlo_f16 v6, s4, v6, 0
	v_cvt_pk_f16_f32 v4, v4, v5
	v_and_b32_e32 v7, 0xffff, v9
	v_lshlrev_b32_e32 v5, 16, v4
	v_and_b32_e32 v4, 0xffff0000, v4
	v_and_b32_e32 v6, 0xffff, v6
	v_or_b32_e32 v4, v4, v7
	v_or3_b32 v5, v5, v6, 0
	v_or3_b32 v4, 0, 0, v4
	v_add_u32_e32 v6, v16, v17
	ds_write_b64 v6, v[4:5] offset:256
.LBB20_4:
	s_or_b64 exec, exec, s[20:21]
	v_bitop3_b32 v7, v10, 15, 1 bitop3:0xc8
	v_mad_u64_u32 v[4:5], s[20:21], s10, v7, 0
	v_mov_b32_e32 v6, v5
	v_mad_u64_u32 v[6:7], s[10:11], s11, v7, v[6:7]
	v_mov_b32_e32 v5, v6
	v_lshl_add_u64 v[2:3], v[4:5], 2, v[2:3]
	global_load_dwordx4 v[18:21], v[2:3], off
	v_or_b32_e32 v4, 1, v10
	s_movk_i32 s10, 0x180
	v_mad_u32_u24 v5, v4, s10, v16
	s_waitcnt vmcnt(0)
	v_fma_mixlo_f16 v6, s4, v18, 0
	v_fma_mixlo_f16 v7, s4, v20, 0
	v_mov_b32_e32 v18, v21
	v_and_b32_e32 v9, 0xffff, v6
	v_and_b32_e32 v12, 0xffff, v7
	v_pk_mul_f32 v[6:7], s[4:5], v[18:19]
	s_nop 0
	v_cvt_pk_f16_f32 v6, v6, v7
	v_lshlrev_b32_e32 v7, 16, v6
	v_and_b32_e32 v6, 0xffff0000, v6
	v_or_b32_e32 v6, v6, v9
	v_or3_b32 v7, v7, v12, 0
	v_or3_b32 v6, 0, 0, v6
	ds_write_b64 v5, v[6:7]
	s_and_saveexec_b64 s[10:11], vcc
	s_cbranch_execz .LBB20_6
; %bb.5:
	global_load_dwordx4 v[18:21], v[2:3], off offset:512
	v_mul_u32_u24_e32 v4, 0x180, v4
	v_add_u32_e32 v4, v16, v4
	s_waitcnt vmcnt(0)
	v_fma_mixlo_f16 v2, s4, v18, 0
	v_fma_mixlo_f16 v3, s4, v20, 0
	v_mov_b32_e32 v18, v21
	v_and_b32_e32 v5, 0xffff, v2
	v_and_b32_e32 v6, 0xffff, v3
	v_pk_mul_f32 v[2:3], s[4:5], v[18:19]
	s_nop 0
	v_cvt_pk_f16_f32 v2, v2, v3
	v_lshlrev_b32_e32 v3, 16, v2
	v_and_b32_e32 v2, 0xffff0000, v2
	v_or_b32_e32 v2, v2, v5
	v_or3_b32 v3, v3, v6, 0
	v_or3_b32 v2, 0, 0, v2
	ds_write_b64 v4, v[2:3] offset:256
.LBB20_6:
	s_or_b64 exec, exec, s[10:11]
	s_cmp_eq_u64 s[14:15], 0
	s_waitcnt lgkmcnt(0)
	s_barrier
	s_cbranch_scc1 .LBB20_8
; %bb.7:
	s_load_dword s4, s[0:1], 0xd0
	s_mov_b32 s5, 0
	s_waitcnt lgkmcnt(0)
	s_mul_i32 s4, s4, s33
	s_add_i32 s4, s4, s2
	s_lshl_b64 s[4:5], s[4:5], 2
	s_add_u32 s4, s14, s4
	s_addc_u32 s5, s15, s5
	s_load_dword s28, s[4:5], 0x0
.LBB20_8:
	s_lshl_b32 s2, s3, 5
	s_waitcnt lgkmcnt(0)
	s_cmp_lt_i32 s2, s28
	v_mbcnt_lo_u32_b32 v4, -1, 0
	s_cbranch_scc1 .LBB20_14
; %bb.9:
	v_mbcnt_hi_u32_b32 v2, -1, v4
	v_and_b32_e32 v3, 0x60, v2
	v_add_u32_e32 v30, 32, v3
	v_xor_b32_e32 v31, 16, v2
	v_xor_b32_e32 v29, 8, v2
	;; [unrolled: 1-line block ×5, first 2 shown]
	v_lshlrev_b32_e32 v14, 2, v0
	s_cbranch_execz .LBB20_15
; %bb.10:
	v_mov_b32_e32 v5, 0
	v_mov_b32_e32 v22, 0
	;; [unrolled: 1-line block ×8, first 2 shown]
.LBB20_11:
	v_cmp_lt_i32_e32 vcc, v31, v30
	s_cmp_lg_u64 s[12:13], 0
	s_cselect_b64 s[6:7], -1, 0
	v_cndmask_b32_e32 v6, v2, v31, vcc
	v_lshlrev_b32_e32 v7, 2, v6
	ds_bpermute_b32 v6, v7, v4
	ds_bpermute_b32 v7, v7, v5
	v_cmp_lt_i32_e32 vcc, v29, v30
	s_cmp_eq_u32 s3, 0
	s_cselect_b64 s[8:9], -1, 0
	v_cndmask_b32_e32 v8, v2, v29, vcc
	v_lshlrev_b32_e32 v8, 2, v8
	s_waitcnt lgkmcnt(0)
	v_pk_add_f32 v[4:5], v[4:5], v[6:7]
	ds_bpermute_b32 v6, v8, v4
	ds_bpermute_b32 v7, v8, v5
	v_cmp_lt_i32_e32 vcc, v32, v30
	s_and_b64 s[6:7], s[8:9], s[6:7]
	s_mov_b64 s[4:5], 0
	v_cndmask_b32_e32 v8, v2, v32, vcc
	v_lshlrev_b32_e32 v8, 2, v8
	s_waitcnt lgkmcnt(0)
	v_pk_add_f32 v[4:5], v[4:5], v[6:7]
	ds_bpermute_b32 v6, v8, v4
	ds_bpermute_b32 v7, v8, v5
	v_cmp_lt_i32_e32 vcc, v33, v30
	s_waitcnt lgkmcnt(0)
	v_pk_add_f32 v[4:5], v[4:5], v[6:7]
	v_cndmask_b32_e32 v8, v2, v33, vcc
	v_lshlrev_b32_e32 v8, 2, v8
	ds_bpermute_b32 v6, v8, v4
	ds_bpermute_b32 v7, v8, v5
	v_cmp_lt_i32_e32 vcc, v34, v30
	s_waitcnt lgkmcnt(0)
	v_pk_add_f32 v[4:5], v[4:5], v[6:7]
	v_cndmask_b32_e32 v2, v2, v34, vcc
	v_lshlrev_b32_e32 v2, 2, v2
	ds_bpermute_b32 v8, v2, v4
	ds_bpermute_b32 v9, v2, v5
	s_and_b64 vcc, exec, s[6:7]
	v_add_u32_e32 v6, s29, v15
	s_cbranch_vccnz .LBB20_26
; %bb.12:
	v_add_u32_e32 v2, s29, v15
	s_andn2_b64 vcc, exec, s[4:5]
	s_waitcnt lgkmcnt(0)
	v_pk_add_f32 v[4:5], v[4:5], v[8:9]
	s_cbranch_vccz .LBB20_27
; %bb.13:
	v_mov_b32_e32 v6, v2
	s_branch .LBB20_28
.LBB20_14:
                                        ; implicit-def: $vgpr2
                                        ; implicit-def: $vgpr30
                                        ; implicit-def: $vgpr31
                                        ; implicit-def: $vgpr29
                                        ; implicit-def: $vgpr32
                                        ; implicit-def: $vgpr33
                                        ; implicit-def: $vgpr34
	v_lshlrev_b32_e32 v14, 2, v0
.LBB20_15:
	s_sub_i32 s4, 0, s36
	s_mul_i32 s4, s4, s24
	s_mul_hi_u32 s4, s24, s4
	s_abs_i32 s15, s29
	s_add_i32 s24, s24, s4
	s_mul_hi_u32 s34, s15, s24
	s_load_dwordx4 s[24:27], s[0:1], 0x98
	s_load_dword s10, s[0:1], 0x54
	s_load_dwordx2 s[4:5], s[0:1], 0x8c
	s_ashr_i32 s38, s29, 31
	s_ashr_i32 s37, s37, 31
	s_waitcnt lgkmcnt(0)
	s_ashr_i32 s11, s26, 2
	s_ashr_i32 s26, s35, 1
	;; [unrolled: 1-line block ×4, first 2 shown]
	s_mul_hi_u32 s4, s24, s33
	s_mul_i32 s39, s24, s35
	s_add_i32 s4, s4, s39
	s_mul_i32 s25, s25, s33
	s_add_i32 s4, s4, s25
	s_mul_i32 s24, s24, s33
	s_add_u32 s6, s6, s24
	s_mul_i32 s24, s34, s36
	s_addc_u32 s7, s7, s4
	s_sub_i32 s15, s15, s24
	s_xor_b32 s4, s38, s37
	s_add_i32 s24, s34, 1
	s_sub_i32 s25, s15, s36
	s_cmp_ge_u32 s15, s36
	s_cselect_b32 s24, s24, s34
	s_cselect_b32 s15, s25, s15
	s_add_i32 s25, s24, 1
	s_cmp_ge_u32 s15, s36
	s_cselect_b32 s15, s25, s24
	s_load_dwordx2 s[20:21], s[0:1], 0xa8
	s_xor_b32 s15, s15, s4
	s_sub_i32 s15, s15, s4
	s_mul_i32 s4, s15, s5
	s_ashr_i32 s5, s4, 31
	s_add_u32 s4, s6, s4
	s_addc_u32 s5, s7, s5
	s_waitcnt lgkmcnt(0)
	s_mul_hi_u32 s6, s20, s33
	s_mul_i32 s7, s20, s35
	s_add_i32 s6, s6, s7
	s_mul_i32 s7, s21, s33
	s_add_i32 s6, s6, s7
	s_mul_i32 s7, s20, s33
	v_lshrrev_b32_e32 v2, 3, v0
	s_add_u32 s7, s8, s7
	s_mul_i32 s15, s15, s27
	v_lshl_add_u32 v3, v11, 2, v2
	s_addc_u32 s8, s9, s6
	s_ashr_i32 s9, s15, 31
	v_mul_lo_u32 v6, s14, v3
	s_add_u32 s6, s7, s15
	v_and_b32_e32 v2, 28, v14
	v_ashrrev_i32_e32 v7, 31, v6
	s_addc_u32 s7, s8, s9
	v_mul_u32_u24_e32 v5, 0x90, v3
	v_lshlrev_b32_e32 v2, 2, v2
	s_movk_i32 s9, 0x1800
	v_lshl_add_u64 v[6:7], v[6:7], 2, s[4:5]
	v_mov_b32_e32 v3, 0
	s_movk_i32 s8, 0x90
	v_add3_u32 v19, v5, v2, s9
	v_lshl_add_u64 v[6:7], v[6:7], 0, v[2:3]
	v_mov_b32_e32 v2, 0x1800
	v_mad_u32_u24 v20, v0, s8, v2
	v_mad_u64_u32 v[8:9], s[4:5], v8, s26, v[0:1]
	v_mov_b32_e32 v2, 0x2a00
	v_lshl_add_u32 v9, v11, 7, v2
	v_lshrrev_b32_e32 v2, 4, v0
	v_add_u32_e32 v5, v2, v10
	v_and_b32_e32 v2, 60, v14
	v_lshlrev_b32_e32 v2, 2, v2
	v_lshl_or_b32 v10, v5, 8, v2
	v_add_u32_e32 v21, 0x1800, v10
	v_mul_lo_u32 v10, s11, v5
	v_ashrrev_i32_e32 v11, 31, v10
	v_lshl_add_u64 v[10:11], v[10:11], 2, s[6:7]
	v_lshl_add_u64 v[10:11], v[10:11], 0, v[2:3]
	s_add_u32 s4, s0, 0xd0
                                        ; implicit-def: $vgpr2
                                        ; implicit-def: $vgpr2
	;; [unrolled: 1-line block ×3, first 2 shown]
	s_addc_u32 s5, s1, 0
	v_mov_b32_e32 v27, 0xfeffffff
	s_mov_b32 s8, 0x3f200000
	s_mov_b32 s9, 0x3fb8aa3b
	;; [unrolled: 1-line block ×4, first 2 shown]
	v_mov_b32_e32 v23, 0x3ca908c9
	s_brev_b32 s21, -2
	s_mov_b32 s24, 0x10001
	v_mov_b32_e32 v24, 0x7f800000
	v_mbcnt_hi_u32_b32 v2, -1, v4
	v_mov_b32_e32 v18, v3
	v_mov_b32_e32 v25, v3
	;; [unrolled: 1-line block ×6, first 2 shown]
.LBB20_16:                              ; =>This Inner Loop Header: Depth=1
	s_mul_hi_i32 s7, s2, s14
	s_mul_i32 s6, s2, s14
	v_lshl_add_u64 v[12:13], s[6:7], 2, v[6:7]
	global_load_dwordx4 v[28:31], v[12:13], off
	s_waitcnt vmcnt(0)
	ds_write_b128 v19, v[28:31]
	s_waitcnt lgkmcnt(0)
	s_barrier
	ds_read_b128 v[30:33], v20
	ds_read_b128 v[34:37], v17
	v_mov_b32_e32 v29, 0
	ds_read_b128 v[38:41], v17 offset:384
	s_waitcnt lgkmcnt(1)
	;;#ASMSTART
	v_dot2_f32_f16 v29, v30, v34, v29
	;;#ASMEND
	s_nop 0
	;;#ASMSTART
	v_dot2_f32_f16 v29, v31, v35, v29
	;;#ASMEND
	v_mov_b32_e32 v28, 0
	;;#ASMSTART
	v_dot2_f32_f16 v29, v32, v36, v29
	;;#ASMEND
	s_nop 0
	;;#ASMSTART
	v_dot2_f32_f16 v29, v33, v37, v29
	;;#ASMEND
	s_waitcnt lgkmcnt(0)
	;;#ASMSTART
	v_dot2_f32_f16 v28, v30, v38, v28
	;;#ASMEND
	s_nop 0
	;;#ASMSTART
	v_dot2_f32_f16 v28, v31, v39, v28
	;;#ASMEND
	s_nop 0
	;;#ASMSTART
	v_dot2_f32_f16 v28, v32, v40, v28
	;;#ASMEND
	s_nop 0
	;;#ASMSTART
	v_dot2_f32_f16 v28, v33, v41, v28
	;;#ASMEND
	ds_read_b128 v[30:33], v20 offset:16
	ds_read_b128 v[34:37], v17 offset:16
	ds_read_b128 v[38:41], v17 offset:400
	s_waitcnt lgkmcnt(1)
	;;#ASMSTART
	v_dot2_f32_f16 v29, v30, v34, v29
	;;#ASMEND
	s_nop 0
	;;#ASMSTART
	v_dot2_f32_f16 v29, v31, v35, v29
	;;#ASMEND
	s_nop 0
	;;#ASMSTART
	v_dot2_f32_f16 v29, v32, v36, v29
	;;#ASMEND
	s_nop 0
	;;#ASMSTART
	v_dot2_f32_f16 v29, v33, v37, v29
	;;#ASMEND
	s_waitcnt lgkmcnt(0)
	;;#ASMSTART
	v_dot2_f32_f16 v28, v30, v38, v28
	;;#ASMEND
	s_nop 0
	;;#ASMSTART
	v_dot2_f32_f16 v28, v31, v39, v28
	;;#ASMEND
	s_nop 0
	;;#ASMSTART
	v_dot2_f32_f16 v28, v32, v40, v28
	;;#ASMEND
	s_nop 0
	;;#ASMSTART
	v_dot2_f32_f16 v28, v33, v41, v28
	;;#ASMEND
	ds_read_b128 v[30:33], v20 offset:32
	ds_read_b128 v[34:37], v17 offset:32
	ds_read_b128 v[38:41], v17 offset:416
	s_waitcnt lgkmcnt(1)
	;;#ASMSTART
	v_dot2_f32_f16 v29, v30, v34, v29
	;;#ASMEND
	s_nop 0
	;;#ASMSTART
	v_dot2_f32_f16 v29, v31, v35, v29
	;;#ASMEND
	s_nop 0
	;; [unrolled: 35-line block ×7, first 2 shown]
	;;#ASMSTART
	v_dot2_f32_f16 v29, v32, v36, v29
	;;#ASMEND
	s_nop 0
	;;#ASMSTART
	v_dot2_f32_f16 v29, v33, v37, v29
	;;#ASMEND
	s_waitcnt lgkmcnt(0)
	;;#ASMSTART
	v_dot2_f32_f16 v28, v30, v38, v28
	;;#ASMEND
	s_nop 0
	;;#ASMSTART
	v_dot2_f32_f16 v28, v31, v39, v28
	;;#ASMEND
	s_nop 0
	;; [unrolled: 4-line block ×3, first 2 shown]
	;;#ASMSTART
	v_dot2_f32_f16 v28, v33, v41, v28
	;;#ASMEND
	s_barrier
	global_load_dwordx4 v[30:33], v[12:13], off offset:128
	s_waitcnt vmcnt(0)
	ds_write_b128 v19, v[30:33]
	s_waitcnt lgkmcnt(0)
	s_barrier
	ds_read_b128 v[30:33], v20
	ds_read_b128 v[34:37], v17 offset:128
	ds_read_b128 v[38:41], v17 offset:512
	s_waitcnt lgkmcnt(1)
	;;#ASMSTART
	v_dot2_f32_f16 v29, v30, v34, v29
	;;#ASMEND
	s_nop 0
	;;#ASMSTART
	v_dot2_f32_f16 v29, v31, v35, v29
	;;#ASMEND
	s_nop 0
	;;#ASMSTART
	v_dot2_f32_f16 v29, v32, v36, v29
	;;#ASMEND
	s_nop 0
	;;#ASMSTART
	v_dot2_f32_f16 v29, v33, v37, v29
	;;#ASMEND
	s_waitcnt lgkmcnt(0)
	;;#ASMSTART
	v_dot2_f32_f16 v28, v30, v38, v28
	;;#ASMEND
	s_nop 0
	;;#ASMSTART
	v_dot2_f32_f16 v28, v31, v39, v28
	;;#ASMEND
	s_nop 0
	;;#ASMSTART
	v_dot2_f32_f16 v28, v32, v40, v28
	;;#ASMEND
	s_nop 0
	;;#ASMSTART
	v_dot2_f32_f16 v28, v33, v41, v28
	;;#ASMEND
	ds_read_b128 v[30:33], v20 offset:16
	ds_read_b128 v[34:37], v17 offset:144
	ds_read_b128 v[38:41], v17 offset:528
	s_waitcnt lgkmcnt(1)
	;;#ASMSTART
	v_dot2_f32_f16 v29, v30, v34, v29
	;;#ASMEND
	s_nop 0
	;;#ASMSTART
	v_dot2_f32_f16 v29, v31, v35, v29
	;;#ASMEND
	s_nop 0
	;;#ASMSTART
	v_dot2_f32_f16 v29, v32, v36, v29
	;;#ASMEND
	s_nop 0
	;;#ASMSTART
	v_dot2_f32_f16 v29, v33, v37, v29
	;;#ASMEND
	s_waitcnt lgkmcnt(0)
	;;#ASMSTART
	v_dot2_f32_f16 v28, v30, v38, v28
	;;#ASMEND
	s_nop 0
	;;#ASMSTART
	v_dot2_f32_f16 v28, v31, v39, v28
	;;#ASMEND
	s_nop 0
	;;#ASMSTART
	v_dot2_f32_f16 v28, v32, v40, v28
	;;#ASMEND
	s_nop 0
	;;#ASMSTART
	v_dot2_f32_f16 v28, v33, v41, v28
	;;#ASMEND
	ds_read_b128 v[30:33], v20 offset:32
	;; [unrolled: 35-line block ×7, first 2 shown]
	ds_read_b128 v[34:37], v17 offset:240
	ds_read_b128 v[38:41], v17 offset:624
	s_waitcnt lgkmcnt(1)
	;;#ASMSTART
	v_dot2_f32_f16 v29, v30, v34, v29
	;;#ASMEND
	s_nop 0
	;;#ASMSTART
	v_dot2_f32_f16 v29, v31, v35, v29
	;;#ASMEND
	s_nop 0
	;; [unrolled: 4-line block ×3, first 2 shown]
	;;#ASMSTART
	v_dot2_f32_f16 v29, v33, v37, v29
	;;#ASMEND
	s_waitcnt lgkmcnt(0)
	;;#ASMSTART
	v_dot2_f32_f16 v28, v30, v38, v28
	;;#ASMEND
	s_nop 0
	;;#ASMSTART
	v_dot2_f32_f16 v28, v31, v39, v28
	;;#ASMEND
	s_nop 0
	;; [unrolled: 4-line block ×3, first 2 shown]
	;;#ASMSTART
	v_dot2_f32_f16 v28, v33, v41, v28
	;;#ASMEND
	s_barrier
	global_load_dwordx4 v[30:33], v[12:13], off offset:256
	v_add_u32_e32 v12, s2, v8
	v_ashrrev_i32_e32 v13, 31, v12
	v_lshl_add_u64 v[12:13], v[12:13], 1, s[30:31]
	s_waitcnt vmcnt(0)
	ds_write_b128 v19, v[30:33]
	s_waitcnt lgkmcnt(0)
	s_barrier
	ds_read_b128 v[30:33], v20
	ds_read_b128 v[34:37], v17 offset:256
	ds_read_b128 v[38:41], v17 offset:640
	s_waitcnt lgkmcnt(1)
	;;#ASMSTART
	v_dot2_f32_f16 v29, v30, v34, v29
	;;#ASMEND
	s_nop 0
	;;#ASMSTART
	v_dot2_f32_f16 v29, v31, v35, v29
	;;#ASMEND
	s_nop 0
	;;#ASMSTART
	v_dot2_f32_f16 v29, v32, v36, v29
	;;#ASMEND
	s_nop 0
	;;#ASMSTART
	v_dot2_f32_f16 v29, v33, v37, v29
	;;#ASMEND
	s_waitcnt lgkmcnt(0)
	;;#ASMSTART
	v_dot2_f32_f16 v28, v30, v38, v28
	;;#ASMEND
	s_nop 0
	;;#ASMSTART
	v_dot2_f32_f16 v28, v31, v39, v28
	;;#ASMEND
	s_nop 0
	;;#ASMSTART
	v_dot2_f32_f16 v28, v32, v40, v28
	;;#ASMEND
	s_nop 0
	;;#ASMSTART
	v_dot2_f32_f16 v28, v33, v41, v28
	;;#ASMEND
	ds_read_b128 v[30:33], v20 offset:16
	ds_read_b128 v[34:37], v17 offset:272
	ds_read_b128 v[38:41], v17 offset:656
	s_waitcnt lgkmcnt(1)
	;;#ASMSTART
	v_dot2_f32_f16 v29, v30, v34, v29
	;;#ASMEND
	s_nop 0
	;;#ASMSTART
	v_dot2_f32_f16 v29, v31, v35, v29
	;;#ASMEND
	s_nop 0
	;;#ASMSTART
	v_dot2_f32_f16 v29, v32, v36, v29
	;;#ASMEND
	s_nop 0
	;;#ASMSTART
	v_dot2_f32_f16 v29, v33, v37, v29
	;;#ASMEND
	s_waitcnt lgkmcnt(0)
	;;#ASMSTART
	v_dot2_f32_f16 v28, v30, v38, v28
	;;#ASMEND
	s_nop 0
	;;#ASMSTART
	v_dot2_f32_f16 v28, v31, v39, v28
	;;#ASMEND
	s_nop 0
	;;#ASMSTART
	v_dot2_f32_f16 v28, v32, v40, v28
	;;#ASMEND
	s_nop 0
	;;#ASMSTART
	v_dot2_f32_f16 v28, v33, v41, v28
	;;#ASMEND
	ds_read_b128 v[30:33], v20 offset:32
	;; [unrolled: 35-line block ×7, first 2 shown]
	ds_read_b128 v[34:37], v17 offset:368
	ds_read_b128 v[38:41], v17 offset:752
	s_waitcnt lgkmcnt(1)
	;;#ASMSTART
	v_dot2_f32_f16 v29, v30, v34, v29
	;;#ASMEND
	s_nop 0
	;;#ASMSTART
	v_dot2_f32_f16 v29, v31, v35, v29
	;;#ASMEND
	s_nop 0
	;; [unrolled: 4-line block ×3, first 2 shown]
	;;#ASMSTART
	v_dot2_f32_f16 v29, v33, v37, v29
	;;#ASMEND
	s_waitcnt lgkmcnt(0)
	;;#ASMSTART
	v_dot2_f32_f16 v28, v30, v38, v28
	;;#ASMEND
	s_nop 0
	;;#ASMSTART
	v_dot2_f32_f16 v28, v31, v39, v28
	;;#ASMEND
	v_cmp_nlt_f32_e64 s[6:7], |v29|, s8
	;;#ASMSTART
	v_dot2_f32_f16 v28, v32, v40, v28
	;;#ASMEND
	s_nop 0
	;;#ASMSTART
	v_dot2_f32_f16 v28, v33, v41, v28
	;;#ASMEND
	global_load_ushort v37, v[12:13], off
                                        ; implicit-def: $vgpr12
	s_and_saveexec_b64 s[26:27], s[6:7]
	s_xor_b64 s[6:7], exec, s[26:27]
	s_cbranch_execz .LBB20_18
; %bb.17:                               ;   in Loop: Header=BB20_16 Depth=1
	v_add_f32_e64 v12, |v29|, |v29|
	v_mul_f32_e32 v13, 0x3fb8aa3b, v12
	v_rndne_f32_e32 v30, v13
	v_sub_f32_e32 v31, v13, v30
	v_fma_f32 v13, v12, s9, -v13
	v_fmac_f32_e32 v13, 0x32a5705f, v12
	v_add_f32_e32 v13, v31, v13
	v_cvt_i32_f32_e32 v30, v30
	v_exp_f32_e32 v13, v13
	v_cmp_ngt_f32_e32 vcc, s15, v12
	v_ldexp_f32 v13, v13, v30
	s_nop 0
	v_cndmask_b32_e32 v13, 0, v13, vcc
	v_cmp_nlt_f32_e32 vcc, s20, v12
	s_nop 1
	v_cndmask_b32_e32 v12, v24, v13, vcc
	v_add_f32_e32 v12, 1.0, v12
	v_rcp_f32_e32 v12, v12
	s_nop 0
	v_fma_f32 v12, v12, -2.0, 1.0
.LBB20_18:                              ;   in Loop: Header=BB20_16 Depth=1
	s_andn2_saveexec_b64 s[6:7], s[6:7]
; %bb.19:                               ;   in Loop: Header=BB20_16 Depth=1
	v_mul_f32_e32 v12, v29, v29
	v_fmamk_f32 v13, v12, 0xbbbac73d, v23
	v_fmaak_f32 v13, v12, v13, 0xbd5c1c4e
	v_fmaak_f32 v13, v12, v13, 0x3e088382
	;; [unrolled: 1-line block ×3, first 2 shown]
	v_mul_f32_e64 v13, |v29|, v13
	v_fma_f32 v12, v12, v13, |v29|
; %bb.20:                               ;   in Loop: Header=BB20_16 Depth=1
	s_or_b64 exec, exec, s[6:7]
	v_and_b32_e32 v13, 0x60, v2
	v_add_u32_e32 v30, 32, v13
	v_xor_b32_e32 v31, 16, v2
	v_cmp_lt_i32_e32 vcc, v31, v30
	v_bfi_b32 v12, s21, v12, v29
	v_max_f32_e32 v29, v27, v27
	v_cndmask_b32_e32 v13, v2, v31, vcc
	v_lshlrev_b32_e32 v38, 2, v13
	s_waitcnt vmcnt(0)
	v_fma_mix_f32 v13, s10, v12, v37 op_sel_hi:[0,0,1]
	v_add_f32_e32 v12, 0x40051340, v13
	v_max_f32_e32 v12, v29, v12
	ds_bpermute_b32 v32, v38, v12
	v_xor_b32_e32 v29, 8, v2
	v_cmp_lt_i32_e32 vcc, v29, v30
	v_cmp_nlt_f32_e64 s[6:7], |v28|, s8
                                        ; implicit-def: $vgpr42
	s_waitcnt lgkmcnt(0)
	v_max_f32_e32 v32, v32, v32
	v_cndmask_b32_e32 v33, v2, v29, vcc
	v_lshlrev_b32_e32 v39, 2, v33
	v_max_f32_e32 v33, v12, v32
	ds_bpermute_b32 v34, v39, v33
	v_xor_b32_e32 v32, 4, v2
	v_cmp_lt_i32_e32 vcc, v32, v30
	s_waitcnt lgkmcnt(0)
	v_max_f32_e32 v34, v34, v34
	v_cndmask_b32_e32 v12, v2, v32, vcc
	v_lshlrev_b32_e32 v12, 2, v12
	v_max_f32_e32 v34, v33, v34
	ds_bpermute_b32 v35, v12, v34
	v_xor_b32_e32 v33, 2, v2
	v_cmp_lt_i32_e32 vcc, v33, v30
	;; [unrolled: 8-line block ×3, first 2 shown]
	s_waitcnt lgkmcnt(0)
	v_max_f32_e32 v41, v41, v41
	v_cndmask_b32_e32 v35, v2, v34, vcc
	v_lshlrev_b32_e32 v35, 2, v35
	v_max_f32_e32 v40, v40, v41
	ds_bpermute_b32 v41, v35, v40
	s_and_saveexec_b64 s[26:27], s[6:7]
	s_xor_b64 s[6:7], exec, s[26:27]
	s_cbranch_execz .LBB20_22
; %bb.21:                               ;   in Loop: Header=BB20_16 Depth=1
	v_add_f32_e64 v42, |v28|, |v28|
	v_mul_f32_e32 v43, 0x3fb8aa3b, v42
	v_rndne_f32_e32 v44, v43
	v_sub_f32_e32 v45, v43, v44
	v_fma_f32 v43, v42, s9, -v43
	v_fmac_f32_e32 v43, 0x32a5705f, v42
	v_add_f32_e32 v43, v45, v43
	v_cvt_i32_f32_e32 v44, v44
	v_exp_f32_e32 v43, v43
	v_cmp_ngt_f32_e32 vcc, s15, v42
	v_ldexp_f32 v43, v43, v44
	s_nop 0
	v_cndmask_b32_e32 v43, 0, v43, vcc
	v_cmp_nlt_f32_e32 vcc, s20, v42
	s_nop 1
	v_cndmask_b32_e32 v42, v24, v43, vcc
	v_add_f32_e32 v42, 1.0, v42
	v_rcp_f32_e32 v42, v42
	s_nop 0
	v_fma_f32 v42, v42, -2.0, 1.0
.LBB20_22:                              ;   in Loop: Header=BB20_16 Depth=1
	s_andn2_saveexec_b64 s[6:7], s[6:7]
; %bb.23:                               ;   in Loop: Header=BB20_16 Depth=1
	v_mul_f32_e32 v42, v28, v28
	v_fmamk_f32 v43, v42, 0xbbbac73d, v23
	v_fmaak_f32 v43, v42, v43, 0xbd5c1c4e
	v_fmaak_f32 v43, v42, v43, 0x3e088382
	;; [unrolled: 1-line block ×3, first 2 shown]
	v_mul_f32_e64 v43, |v28|, v43
	v_fma_f32 v42, v42, v43, |v28|
; %bb.24:                               ;   in Loop: Header=BB20_16 Depth=1
	s_or_b64 exec, exec, s[6:7]
	v_cvt_f32_f16_e32 v37, v37
	v_bfi_b32 v28, s21, v42, v28
	s_waitcnt lgkmcnt(0)
	v_max_f32_e32 v43, v41, v41
	v_max_f32_e32 v41, v26, v26
	v_fmac_f32_e32 v37, s10, v28
	v_add_f32_e32 v28, 0x40051340, v37
	v_max_f32_e32 v28, v41, v28
	ds_bpermute_b32 v38, v38, v28
	s_mul_hi_i32 s7, s2, s11
	s_mul_i32 s6, s2, s11
	v_max_f32_e32 v42, v40, v40
	s_waitcnt lgkmcnt(0)
	v_max_f32_e32 v38, v38, v38
	v_max_f32_e32 v28, v28, v38
	ds_bpermute_b32 v44, v39, v28
	v_lshl_add_u64 v[38:39], s[6:7], 2, v[10:11]
	s_barrier
	s_waitcnt lgkmcnt(0)
	global_load_dwordx4 v[38:41], v[38:39], off
	v_max_f32_e32 v44, v44, v44
	v_max_f32_e32 v28, v28, v44
	ds_bpermute_b32 v44, v12, v28
	v_max_f32_e32 v12, v42, v43
	v_sub_f32_e32 v27, v27, v12
	v_mul_f32_e32 v42, 0x3fb8aa3b, v27
	v_fma_f32 v43, v27, s9, -v42
	s_waitcnt lgkmcnt(0)
	v_max_f32_e32 v44, v44, v44
	v_max_f32_e32 v28, v28, v44
	ds_bpermute_b32 v36, v36, v28
	v_rndne_f32_e32 v44, v42
	v_fmac_f32_e32 v43, 0x32a5705f, v27
	v_sub_f32_e32 v42, v42, v44
	v_add_f32_e32 v42, v42, v43
	s_waitcnt lgkmcnt(0)
	v_max_f32_e32 v36, v36, v36
	v_max_f32_e32 v28, v28, v36
	ds_bpermute_b32 v35, v35, v28
	v_exp_f32_e32 v36, v42
	v_cvt_i32_f32_e32 v42, v44
	v_sub_f32_e32 v43, v13, v12
	v_cmp_ngt_f32_e32 vcc, s15, v27
	s_waitcnt lgkmcnt(0)
	v_max_f32_e32 v13, v35, v35
	v_max_f32_e32 v13, v28, v13
	v_mul_f32_e32 v28, 0x3fb8aa3b, v43
	v_ldexp_f32 v36, v36, v42
	v_fma_f32 v35, v43, s9, -v28
	v_rndne_f32_e32 v42, v28
	v_fmac_f32_e32 v35, 0x32a5705f, v43
	v_sub_f32_e32 v28, v28, v42
	v_add_f32_e32 v28, v28, v35
	v_exp_f32_e32 v28, v28
	v_cvt_i32_f32_e32 v35, v42
	v_cndmask_b32_e32 v36, 0, v36, vcc
	v_cmp_nlt_f32_e32 vcc, s20, v27
	v_add_u32_e32 v86, 0x1800, v16
	v_ldexp_f32 v27, v28, v35
	v_sub_f32_e32 v35, v26, v13
	v_mul_f32_e32 v26, 0x3fb8aa3b, v35
	v_cndmask_b32_e32 v84, v24, v36, vcc
	v_fma_f32 v36, v35, s9, -v26
	v_rndne_f32_e32 v42, v26
	v_fmac_f32_e32 v36, 0x32a5705f, v35
	v_sub_f32_e32 v26, v26, v42
	v_add_f32_e32 v26, v26, v36
	v_exp_f32_e32 v36, v26
	v_cvt_i32_f32_e32 v42, v42
	v_cmp_ngt_f32_e32 vcc, s15, v43
	v_cvt_f16_f32_e32 v28, v84
	s_or_b32 s6, s2, 16
	v_cndmask_b32_e32 v27, 0, v27, vcc
	v_cmp_nlt_f32_e32 vcc, s20, v43
	v_mul_u32_u24_e32 v28, 0x10001, v28
	v_pk_mul_f16 v25, v25, v28
	v_cndmask_b32_e32 v26, v24, v27, vcc
	v_ldexp_f32 v27, v36, v42
	v_sub_f32_e32 v36, v37, v13
	v_mul_f32_e32 v37, 0x3fb8aa3b, v36
	v_fma_f32 v42, v36, s9, -v37
	v_rndne_f32_e32 v43, v37
	v_fmac_f32_e32 v42, 0x32a5705f, v36
	v_sub_f32_e32 v37, v37, v43
	v_add_f32_e32 v37, v37, v42
	v_exp_f32_e32 v37, v37
	v_cvt_i32_f32_e32 v42, v43
	v_cmp_ngt_f32_e32 vcc, s15, v35
	s_mul_hi_i32 s7, s6, s11
	s_mul_i32 s6, s6, s11
	v_cndmask_b32_e32 v27, 0, v27, vcc
	v_cmp_nlt_f32_e32 vcc, s20, v35
	s_nop 1
	v_cndmask_b32_e32 v85, v24, v27, vcc
	v_ldexp_f32 v27, v37, v42
	v_cmp_ngt_f32_e32 vcc, s15, v36
	v_cvt_f16_f32_e32 v35, v85
	v_mul_u32_u24_e32 v35, 0x10001, v35
	v_cndmask_b32_e32 v27, 0, v27, vcc
	v_cmp_nlt_f32_e32 vcc, s20, v36
	v_add_u32_e32 v36, v9, v14
	v_pk_mul_f16 v3, v3, v35
	v_cndmask_b32_e32 v27, v24, v27, vcc
	v_cvt_pk_f16_f32 v37, v26, v27
	ds_write_b32 v36, v37
	s_waitcnt vmcnt(0)
	ds_write_b128 v21, v[38:41]
	s_waitcnt lgkmcnt(0)
	s_barrier
	ds_read_b128 v[36:39], v9
	ds_read2_b64 v[40:43], v86 offset1:32
	ds_read_b128 v[44:47], v9 offset:16
	ds_read_b128 v[48:51], v9 offset:32
	;; [unrolled: 1-line block ×3, first 2 shown]
	s_waitcnt lgkmcnt(4)
	v_mul_u32_u24_sdwa v56, v36, s24 dst_sel:DWORD dst_unused:UNUSED_PAD src0_sel:WORD_0 src1_sel:DWORD
	s_waitcnt lgkmcnt(3)
	v_pk_mul_f16 v57, v40, v56
	v_pk_fma_f16 v25, v41, v56, v25
	v_pk_fma_f16 v22, v22, v28, v57
	ds_read2_b64 v[56:59], v86 offset0:64 offset1:96
	v_mul_u32_u24_sdwa v36, v36, s24 dst_sel:DWORD dst_unused:UNUSED_PAD src0_sel:WORD_1 src1_sel:DWORD
	v_pk_mul_f16 v28, v40, v36
	v_pk_fma_f16 v3, v41, v36, v3
	v_pk_fma_f16 v18, v18, v35, v28
	v_mul_u32_u24_sdwa v28, v37, s24 dst_sel:DWORD dst_unused:UNUSED_PAD src0_sel:WORD_0 src1_sel:DWORD
	v_pk_fma_f16 v22, v42, v28, v22
	v_pk_fma_f16 v25, v43, v28, v25
	v_mul_u32_u24_sdwa v28, v38, s24 dst_sel:DWORD dst_unused:UNUSED_PAD src0_sel:WORD_0 src1_sel:DWORD
	v_mul_u32_u24_sdwa v35, v37, s24 dst_sel:DWORD dst_unused:UNUSED_PAD src0_sel:WORD_1 src1_sel:DWORD
	s_waitcnt lgkmcnt(0)
	v_pk_fma_f16 v22, v56, v28, v22
	v_pk_fma_f16 v25, v57, v28, v25
	v_add_u32_e32 v28, 0x2000, v16
	v_lshl_add_u64 v[36:37], s[6:7], 2, v[10:11]
	v_pk_fma_f16 v18, v42, v35, v18
	v_pk_fma_f16 v3, v43, v35, v3
	ds_read2_b64 v[40:43], v86 offset0:128 offset1:160
	ds_read2_b64 v[60:63], v86 offset0:192 offset1:224
	ds_read2_b64 v[64:67], v28 offset1:32
	ds_read2_b64 v[68:71], v28 offset0:64 offset1:96
	ds_read2_b64 v[72:75], v28 offset0:128 offset1:160
	;; [unrolled: 1-line block ×3, first 2 shown]
	s_waitcnt lgkmcnt(0)
	s_barrier
	global_load_dwordx4 v[80:83], v[36:37], off
	v_mul_u32_u24_sdwa v35, v38, s24 dst_sel:DWORD dst_unused:UNUSED_PAD src0_sel:WORD_1 src1_sel:DWORD
	v_pk_fma_f16 v18, v56, v35, v18
	v_pk_fma_f16 v3, v57, v35, v3
	v_mul_u32_u24_sdwa v35, v39, s24 dst_sel:DWORD dst_unused:UNUSED_PAD src0_sel:WORD_0 src1_sel:DWORD
	v_mul_u32_u24_sdwa v36, v39, s24 dst_sel:DWORD dst_unused:UNUSED_PAD src0_sel:WORD_1 src1_sel:DWORD
	v_pk_fma_f16 v22, v58, v35, v22
	v_pk_fma_f16 v18, v58, v36, v18
	;; [unrolled: 1-line block ×4, first 2 shown]
	v_pk_fma_f32 v[4:5], v[4:5], v[84:85], v[26:27]
	v_mul_u32_u24_sdwa v26, v44, s24 dst_sel:DWORD dst_unused:UNUSED_PAD src0_sel:WORD_0 src1_sel:DWORD
	v_mul_u32_u24_sdwa v27, v44, s24 dst_sel:DWORD dst_unused:UNUSED_PAD src0_sel:WORD_1 src1_sel:DWORD
	v_pk_fma_f16 v22, v40, v26, v22
	v_pk_fma_f16 v18, v40, v27, v18
	v_pk_fma_f16 v25, v41, v26, v25
	v_pk_fma_f16 v3, v41, v27, v3
	v_mul_u32_u24_sdwa v26, v45, s24 dst_sel:DWORD dst_unused:UNUSED_PAD src0_sel:WORD_0 src1_sel:DWORD
	v_mul_u32_u24_sdwa v27, v45, s24 dst_sel:DWORD dst_unused:UNUSED_PAD src0_sel:WORD_1 src1_sel:DWORD
	v_pk_fma_f16 v22, v42, v26, v22
	v_pk_fma_f16 v18, v42, v27, v18
	v_pk_fma_f16 v25, v43, v26, v25
	v_pk_fma_f16 v3, v43, v27, v3
	;; [unrolled: 6-line block ×11, first 2 shown]
	v_mul_u32_u24_sdwa v26, v55, s24 dst_sel:DWORD dst_unused:UNUSED_PAD src0_sel:WORD_0 src1_sel:DWORD
	v_mul_u32_u24_sdwa v27, v55, s24 dst_sel:DWORD dst_unused:UNUSED_PAD src0_sel:WORD_1 src1_sel:DWORD
	v_pk_fma_f16 v22, v78, v26, v22
	s_waitcnt vmcnt(0)
	ds_write_b128 v21, v[80:83]
	s_waitcnt lgkmcnt(0)
	s_barrier
	ds_read_b128 v[36:39], v9 offset:64
	ds_read2_b64 v[40:43], v86 offset1:32
	ds_read_b128 v[44:47], v9 offset:80
	ds_read_b128 v[48:51], v9 offset:96
	;; [unrolled: 1-line block ×3, first 2 shown]
	ds_read2_b64 v[56:59], v86 offset0:64 offset1:96
	v_pk_fma_f16 v18, v78, v27, v18
	v_pk_fma_f16 v25, v79, v26, v25
	;; [unrolled: 1-line block ×3, first 2 shown]
	s_waitcnt lgkmcnt(5)
	v_mul_u32_u24_sdwa v26, v36, s24 dst_sel:DWORD dst_unused:UNUSED_PAD src0_sel:WORD_0 src1_sel:DWORD
	v_mul_u32_u24_sdwa v27, v36, s24 dst_sel:DWORD dst_unused:UNUSED_PAD src0_sel:WORD_1 src1_sel:DWORD
	s_waitcnt lgkmcnt(4)
	v_pk_fma_f16 v22, v40, v26, v22
	v_pk_fma_f16 v18, v40, v27, v18
	;; [unrolled: 1-line block ×4, first 2 shown]
	v_mul_u32_u24_sdwa v26, v37, s24 dst_sel:DWORD dst_unused:UNUSED_PAD src0_sel:WORD_0 src1_sel:DWORD
	v_mul_u32_u24_sdwa v27, v37, s24 dst_sel:DWORD dst_unused:UNUSED_PAD src0_sel:WORD_1 src1_sel:DWORD
	v_pk_fma_f16 v22, v42, v26, v22
	v_pk_fma_f16 v18, v42, v27, v18
	v_pk_fma_f16 v25, v43, v26, v25
	v_pk_fma_f16 v3, v43, v27, v3
	v_mul_u32_u24_sdwa v26, v38, s24 dst_sel:DWORD dst_unused:UNUSED_PAD src0_sel:WORD_0 src1_sel:DWORD
	v_mul_u32_u24_sdwa v27, v38, s24 dst_sel:DWORD dst_unused:UNUSED_PAD src0_sel:WORD_1 src1_sel:DWORD
	s_waitcnt lgkmcnt(0)
	v_pk_fma_f16 v22, v56, v26, v22
	v_pk_fma_f16 v18, v56, v27, v18
	v_pk_fma_f16 v25, v57, v26, v25
	v_pk_fma_f16 v3, v57, v27, v3
	v_mul_u32_u24_sdwa v26, v39, s24 dst_sel:DWORD dst_unused:UNUSED_PAD src0_sel:WORD_0 src1_sel:DWORD
	v_mul_u32_u24_sdwa v27, v39, s24 dst_sel:DWORD dst_unused:UNUSED_PAD src0_sel:WORD_1 src1_sel:DWORD
	ds_read2_b64 v[36:39], v86 offset0:128 offset1:160
	ds_read2_b64 v[40:43], v86 offset0:192 offset1:224
	v_pk_fma_f16 v22, v58, v26, v22
	v_pk_fma_f16 v18, v58, v27, v18
	;; [unrolled: 1-line block ×4, first 2 shown]
	v_mul_u32_u24_sdwa v26, v44, s24 dst_sel:DWORD dst_unused:UNUSED_PAD src0_sel:WORD_0 src1_sel:DWORD
	v_mul_u32_u24_sdwa v27, v44, s24 dst_sel:DWORD dst_unused:UNUSED_PAD src0_sel:WORD_1 src1_sel:DWORD
	s_waitcnt lgkmcnt(1)
	v_pk_fma_f16 v22, v36, v26, v22
	v_pk_fma_f16 v18, v36, v27, v18
	;; [unrolled: 1-line block ×4, first 2 shown]
	v_mul_u32_u24_sdwa v26, v45, s24 dst_sel:DWORD dst_unused:UNUSED_PAD src0_sel:WORD_0 src1_sel:DWORD
	v_mul_u32_u24_sdwa v27, v45, s24 dst_sel:DWORD dst_unused:UNUSED_PAD src0_sel:WORD_1 src1_sel:DWORD
	v_pk_fma_f16 v22, v38, v26, v22
	v_pk_fma_f16 v18, v38, v27, v18
	;; [unrolled: 1-line block ×4, first 2 shown]
	v_mul_u32_u24_sdwa v26, v46, s24 dst_sel:DWORD dst_unused:UNUSED_PAD src0_sel:WORD_0 src1_sel:DWORD
	v_mul_u32_u24_sdwa v27, v46, s24 dst_sel:DWORD dst_unused:UNUSED_PAD src0_sel:WORD_1 src1_sel:DWORD
	ds_read2_b64 v[36:39], v28 offset1:32
	s_waitcnt lgkmcnt(1)
	v_pk_fma_f16 v22, v40, v26, v22
	v_pk_fma_f16 v18, v40, v27, v18
	;; [unrolled: 1-line block ×4, first 2 shown]
	v_mul_u32_u24_sdwa v26, v47, s24 dst_sel:DWORD dst_unused:UNUSED_PAD src0_sel:WORD_0 src1_sel:DWORD
	v_mul_u32_u24_sdwa v27, v47, s24 dst_sel:DWORD dst_unused:UNUSED_PAD src0_sel:WORD_1 src1_sel:DWORD
	v_pk_fma_f16 v22, v42, v26, v22
	v_pk_fma_f16 v18, v42, v27, v18
	;; [unrolled: 1-line block ×4, first 2 shown]
	ds_read2_b64 v[40:43], v28 offset0:64 offset1:96
	v_mul_u32_u24_sdwa v26, v48, s24 dst_sel:DWORD dst_unused:UNUSED_PAD src0_sel:WORD_0 src1_sel:DWORD
	v_mul_u32_u24_sdwa v27, v48, s24 dst_sel:DWORD dst_unused:UNUSED_PAD src0_sel:WORD_1 src1_sel:DWORD
	s_waitcnt lgkmcnt(1)
	v_pk_fma_f16 v22, v36, v26, v22
	v_pk_fma_f16 v18, v36, v27, v18
	;; [unrolled: 1-line block ×4, first 2 shown]
	v_mul_u32_u24_sdwa v26, v49, s24 dst_sel:DWORD dst_unused:UNUSED_PAD src0_sel:WORD_0 src1_sel:DWORD
	v_mul_u32_u24_sdwa v27, v49, s24 dst_sel:DWORD dst_unused:UNUSED_PAD src0_sel:WORD_1 src1_sel:DWORD
	v_pk_fma_f16 v22, v38, v26, v22
	v_pk_fma_f16 v18, v38, v27, v18
	;; [unrolled: 1-line block ×4, first 2 shown]
	v_mul_u32_u24_sdwa v26, v50, s24 dst_sel:DWORD dst_unused:UNUSED_PAD src0_sel:WORD_0 src1_sel:DWORD
	v_mul_u32_u24_sdwa v27, v50, s24 dst_sel:DWORD dst_unused:UNUSED_PAD src0_sel:WORD_1 src1_sel:DWORD
	s_waitcnt lgkmcnt(0)
	v_pk_fma_f16 v22, v40, v26, v22
	v_pk_fma_f16 v18, v40, v27, v18
	;; [unrolled: 1-line block ×4, first 2 shown]
	v_mul_u32_u24_sdwa v26, v51, s24 dst_sel:DWORD dst_unused:UNUSED_PAD src0_sel:WORD_0 src1_sel:DWORD
	v_mul_u32_u24_sdwa v27, v51, s24 dst_sel:DWORD dst_unused:UNUSED_PAD src0_sel:WORD_1 src1_sel:DWORD
	ds_read2_b64 v[36:39], v28 offset0:128 offset1:160
	v_pk_fma_f16 v22, v42, v26, v22
	v_pk_fma_f16 v18, v42, v27, v18
	;; [unrolled: 1-line block ×4, first 2 shown]
	ds_read2_b64 v[40:43], v28 offset0:192 offset1:224
	s_waitcnt lgkmcnt(0)
	s_barrier
	s_load_dword s6, s[4:5], 0x4
	v_mul_u32_u24_sdwa v26, v52, s24 dst_sel:DWORD dst_unused:UNUSED_PAD src0_sel:WORD_0 src1_sel:DWORD
	v_mul_u32_u24_sdwa v27, v52, s24 dst_sel:DWORD dst_unused:UNUSED_PAD src0_sel:WORD_1 src1_sel:DWORD
	v_pk_fma_f16 v22, v36, v26, v22
	v_pk_fma_f16 v18, v36, v27, v18
	;; [unrolled: 1-line block ×4, first 2 shown]
	v_mul_u32_u24_sdwa v26, v53, s24 dst_sel:DWORD dst_unused:UNUSED_PAD src0_sel:WORD_0 src1_sel:DWORD
	v_mul_u32_u24_sdwa v27, v53, s24 dst_sel:DWORD dst_unused:UNUSED_PAD src0_sel:WORD_1 src1_sel:DWORD
	v_pk_fma_f16 v22, v38, v26, v22
	v_pk_fma_f16 v18, v38, v27, v18
	;; [unrolled: 1-line block ×4, first 2 shown]
	v_mul_u32_u24_sdwa v26, v54, s24 dst_sel:DWORD dst_unused:UNUSED_PAD src0_sel:WORD_0 src1_sel:DWORD
	v_mul_u32_u24_sdwa v27, v54, s24 dst_sel:DWORD dst_unused:UNUSED_PAD src0_sel:WORD_1 src1_sel:DWORD
	s_waitcnt lgkmcnt(0)
	s_lshl_b32 s6, s6, 5
	v_pk_fma_f16 v22, v40, v26, v22
	v_pk_fma_f16 v18, v40, v27, v18
	;; [unrolled: 1-line block ×4, first 2 shown]
	v_mul_u32_u24_sdwa v26, v55, s24 dst_sel:DWORD dst_unused:UNUSED_PAD src0_sel:WORD_0 src1_sel:DWORD
	v_mul_u32_u24_sdwa v27, v55, s24 dst_sel:DWORD dst_unused:UNUSED_PAD src0_sel:WORD_1 src1_sel:DWORD
	s_add_i32 s2, s6, s2
	v_pk_fma_f16 v22, v42, v26, v22
	v_pk_fma_f16 v18, v42, v27, v18
	;; [unrolled: 1-line block ×3, first 2 shown]
	s_cmp_ge_i32 s2, s28
	v_pk_fma_f16 v3, v43, v27, v3
	s_cbranch_scc1 .LBB20_11
; %bb.25:                               ;   in Loop: Header=BB20_16 Depth=1
	v_mov_b32_e32 v27, v12
	v_mov_b32_e32 v26, v13
	s_branch .LBB20_16
.LBB20_26:
                                        ; implicit-def: $vgpr2
	s_waitcnt lgkmcnt(0)
	v_pk_add_f32 v[4:5], v[4:5], v[8:9]
.LBB20_27:
	v_ashrrev_i32_e32 v7, 31, v6
	v_lshl_add_u64 v[8:9], v[6:7], 2, s[12:13]
	global_load_dwordx2 v[8:9], v[8:9], off
	v_max_f32_e32 v2, v12, v12
	v_max_f32_e32 v11, v13, v13
	s_mov_b32 s2, 0x3fb8aa3b
	s_mov_b32 s4, 0xc2ce8ed0
	;; [unrolled: 1-line block ×3, first 2 shown]
	v_mov_b32_e32 v7, 0x7f800000
	s_waitcnt vmcnt(0)
	v_max_f32_e32 v10, v8, v8
	v_max_f32_e32 v10, v2, v10
	;; [unrolled: 1-line block ×3, first 2 shown]
	v_sub_f32_e32 v2, v12, v10
	v_max_f32_e32 v11, v11, v15
	v_sub_f32_e32 v12, v8, v10
	v_mul_f32_e32 v8, 0x3fb8aa3b, v2
	v_sub_f32_e32 v13, v13, v11
	v_sub_f32_e32 v15, v9, v11
	v_mul_f32_e32 v9, 0x3fb8aa3b, v12
	v_fma_f32 v19, v2, s2, -v8
	v_rndne_f32_e32 v20, v8
	v_mul_f32_e32 v16, 0x3fb8aa3b, v13
	v_fma_f32 v21, v12, s2, -v9
	v_rndne_f32_e32 v23, v9
	v_fmac_f32_e32 v19, 0x32a5705f, v2
	v_sub_f32_e32 v8, v8, v20
	v_mul_f32_e32 v17, 0x3fb8aa3b, v15
	v_fma_f32 v24, v13, s2, -v16
	v_rndne_f32_e32 v26, v16
	v_fmac_f32_e32 v21, 0x32a5705f, v12
	v_sub_f32_e32 v9, v9, v23
	v_add_f32_e32 v8, v8, v19
	v_fma_f32 v27, v15, s2, -v17
	v_rndne_f32_e32 v28, v17
	v_cvt_i32_f32_e32 v20, v20
	v_fmac_f32_e32 v24, 0x32a5705f, v13
	v_sub_f32_e32 v16, v16, v26
	v_add_f32_e32 v9, v9, v21
	v_exp_f32_e32 v8, v8
	v_cvt_i32_f32_e32 v23, v23
	v_fmac_f32_e32 v27, 0x32a5705f, v15
	v_sub_f32_e32 v17, v17, v28
	v_add_f32_e32 v16, v16, v24
	v_exp_f32_e32 v9, v9
	v_cvt_i32_f32_e32 v26, v26
	v_add_f32_e32 v17, v17, v27
	v_exp_f32_e32 v16, v16
	v_cvt_i32_f32_e32 v28, v28
	v_exp_f32_e32 v17, v17
	v_ldexp_f32 v8, v8, v20
	v_cmp_ngt_f32_e32 vcc, s4, v2
	v_ldexp_f32 v9, v9, v23
	v_ldexp_f32 v16, v16, v26
	v_cndmask_b32_e32 v8, 0, v8, vcc
	v_cmp_ngt_f32_e32 vcc, s4, v12
	v_ldexp_f32 v17, v17, v28
	s_nop 0
	v_cndmask_b32_e32 v9, 0, v9, vcc
	v_cmp_ngt_f32_e32 vcc, s4, v13
	s_nop 1
	v_cndmask_b32_e32 v16, 0, v16, vcc
	v_cmp_ngt_f32_e32 vcc, s4, v15
	s_nop 1
	v_cndmask_b32_e32 v17, 0, v17, vcc
	v_cmp_nlt_f32_e32 vcc, s5, v2
	s_nop 1
	v_cndmask_b32_e32 v8, v7, v8, vcc
	v_cmp_nlt_f32_e32 vcc, s5, v12
	v_cvt_f16_f32_e32 v2, v8
	v_mul_u32_u24_e32 v2, 0x10001, v2
	v_cndmask_b32_e32 v12, v7, v9, vcc
	v_cmp_nlt_f32_e32 vcc, s5, v13
	v_pk_mul_f16 v22, v22, v2
	v_pk_mul_f16 v25, v25, v2
	v_cndmask_b32_e32 v9, v7, v16, vcc
	v_cvt_f16_f32_e32 v16, v9
	v_cmp_nlt_f32_e32 vcc, s5, v15
	s_nop 1
	v_cndmask_b32_e32 v13, v7, v17, vcc
	v_mul_u32_u24_e32 v7, 0x10001, v16
	v_pk_fma_f32 v[4:5], v[4:5], v[8:9], v[12:13]
	v_pk_mul_f16 v18, v18, v7
	v_pk_mul_f16 v3, v3, v7
	v_mov_b64_e32 v[12:13], v[10:11]
.LBB20_28:
	s_load_dword s6, s[0:1], 0xd4
	v_mov_b32_e32 v2, 1.0
	s_waitcnt lgkmcnt(0)
	s_cmp_lg_u32 s6, 1
	s_cselect_b64 s[0:1], -1, 0
	s_cmp_eq_u32 s6, 1
	s_cselect_b64 s[4:5], -1, 0
	s_and_b64 vcc, exec, s[0:1]
	s_cbranch_vccnz .LBB20_30
; %bb.29:
	v_div_scale_f32 v2, s[8:9], v4, v4, 1.0
	v_rcp_f32_e32 v7, v2
	v_div_scale_f32 v8, vcc, 1.0, v4, 1.0
	v_fma_f32 v9, -v2, v7, 1.0
	v_fmac_f32_e32 v7, v9, v7
	v_mul_f32_e32 v9, v8, v7
	v_fma_f32 v10, -v2, v9, v8
	v_fmac_f32_e32 v9, v10, v7
	v_fma_f32 v2, -v2, v9, v8
	v_div_fmas_f32 v2, v2, v7, v9
	v_div_fixup_f32 v2, v2, v4, 1.0
.LBB20_30:
	s_mul_i32 s33, s33, s22
	v_add_u32_e32 v1, s33, v1
	v_mad_u64_u32 v[6:7], s[8:9], v1, s23, v[6:7]
	v_cvt_f32_f16_sdwa v9, v22 dst_sel:DWORD dst_unused:UNUSED_PAD src0_sel:WORD_1
	v_cvt_f32_f16_e32 v8, v22
	v_cvt_f32_f16_sdwa v11, v25 dst_sel:DWORD dst_unused:UNUSED_PAD src0_sel:WORD_1
	v_cvt_f32_f16_e32 v10, v25
	v_cmp_eq_u32_e32 vcc, 0, v0
	v_mul_lo_u32 v0, s6, v6
	v_add_u32_e32 v0, s3, v0
	v_lshl_add_u32 v6, v0, 7, v14
	v_mov_b32_e32 v7, 0
	s_and_b64 s[0:1], vcc, s[0:1]
	v_lshl_add_u64 v[16:17], v[6:7], 2, s[16:17]
	v_pk_mul_f32 v[6:7], v[2:3], v[8:9] op_sel_hi:[0,1]
	v_pk_mul_f32 v[8:9], v[2:3], v[10:11] op_sel_hi:[0,1]
	global_store_dwordx4 v[16:17], v[6:9], off
	s_and_saveexec_b64 s[2:3], s[0:1]
	s_cbranch_execz .LBB20_32
; %bb.31:
	v_ashrrev_i32_e32 v1, 31, v0
	v_lshl_add_u64 v[6:7], v[0:1], 3, s[18:19]
	v_mov_b32_e32 v8, v12
	v_mov_b32_e32 v9, v4
	global_store_dwordx2 v[6:7], v[8:9], off
.LBB20_32:
	s_or_b64 exec, exec, s[2:3]
	s_andn2_b64 vcc, exec, s[4:5]
	v_mov_b32_e32 v2, 1.0
	s_cbranch_vccnz .LBB20_34
; %bb.33:
	v_div_scale_f32 v1, s[2:3], v5, v5, 1.0
	v_rcp_f32_e32 v2, v1
	v_div_scale_f32 v4, vcc, 1.0, v5, 1.0
	v_fma_f32 v6, -v1, v2, 1.0
	v_fmac_f32_e32 v2, v6, v2
	v_mul_f32_e32 v6, v4, v2
	v_fma_f32 v7, -v1, v6, v4
	v_fmac_f32_e32 v6, v7, v2
	v_fma_f32 v1, -v1, v6, v4
	v_div_fmas_f32 v1, v1, v2, v6
	v_div_fixup_f32 v2, v1, v5, 1.0
.LBB20_34:
	v_cvt_f32_f16_sdwa v9, v18 dst_sel:DWORD dst_unused:UNUSED_PAD src0_sel:WORD_1
	v_cvt_f32_f16_e32 v8, v18
	v_cvt_f32_f16_sdwa v11, v3 dst_sel:DWORD dst_unused:UNUSED_PAD src0_sel:WORD_1
	v_cvt_f32_f16_e32 v10, v3
	v_add_u32_e32 v0, s6, v0
	v_lshl_add_u32 v6, v0, 7, v14
	v_mov_b32_e32 v7, 0
	v_lshl_add_u64 v[14:15], v[6:7], 2, s[16:17]
	v_pk_mul_f32 v[6:7], v[2:3], v[8:9] op_sel_hi:[0,1]
	v_pk_mul_f32 v[8:9], v[2:3], v[10:11] op_sel_hi:[0,1]
	global_store_dwordx4 v[14:15], v[6:9], off
	s_and_saveexec_b64 s[2:3], s[0:1]
	s_cbranch_execz .LBB20_36
; %bb.35:
	v_ashrrev_i32_e32 v1, 31, v0
	v_lshl_add_u64 v[0:1], v[0:1], 3, s[18:19]
	v_mov_b32_e32 v4, v13
	global_store_dwordx2 v[0:1], v[4:5], off
.LBB20_36:
	s_endpgm
	.section	.rodata,"a",@progbits
	.p2align	6, 0x0
	.amdhsa_kernel _ZL15flash_attn_tileILi192ELi128ELi1ELi16ELb1EEvPKcS1_S1_S1_S1_PKiPfP15HIP_vector_typeIfLj2EEffffjfiS5_IjLj3EEiiiiiiiiiiiliiliiiiil
		.amdhsa_group_segment_fixed_size 11776
		.amdhsa_private_segment_fixed_size 0
		.amdhsa_kernarg_size 464
		.amdhsa_user_sgpr_count 2
		.amdhsa_user_sgpr_dispatch_ptr 0
		.amdhsa_user_sgpr_queue_ptr 0
		.amdhsa_user_sgpr_kernarg_segment_ptr 1
		.amdhsa_user_sgpr_dispatch_id 0
		.amdhsa_user_sgpr_kernarg_preload_length 0
		.amdhsa_user_sgpr_kernarg_preload_offset 0
		.amdhsa_user_sgpr_private_segment_size 0
		.amdhsa_uses_dynamic_stack 0
		.amdhsa_enable_private_segment 0
		.amdhsa_system_sgpr_workgroup_id_x 1
		.amdhsa_system_sgpr_workgroup_id_y 1
		.amdhsa_system_sgpr_workgroup_id_z 1
		.amdhsa_system_sgpr_workgroup_info 0
		.amdhsa_system_vgpr_workitem_id 1
		.amdhsa_next_free_vgpr 87
		.amdhsa_next_free_sgpr 44
		.amdhsa_accum_offset 88
		.amdhsa_reserve_vcc 1
		.amdhsa_float_round_mode_32 0
		.amdhsa_float_round_mode_16_64 0
		.amdhsa_float_denorm_mode_32 3
		.amdhsa_float_denorm_mode_16_64 3
		.amdhsa_dx10_clamp 1
		.amdhsa_ieee_mode 1
		.amdhsa_fp16_overflow 0
		.amdhsa_tg_split 0
		.amdhsa_exception_fp_ieee_invalid_op 0
		.amdhsa_exception_fp_denorm_src 0
		.amdhsa_exception_fp_ieee_div_zero 0
		.amdhsa_exception_fp_ieee_overflow 0
		.amdhsa_exception_fp_ieee_underflow 0
		.amdhsa_exception_fp_ieee_inexact 0
		.amdhsa_exception_int_div_zero 0
	.end_amdhsa_kernel
	.section	.text._ZL15flash_attn_tileILi192ELi128ELi1ELi16ELb1EEvPKcS1_S1_S1_S1_PKiPfP15HIP_vector_typeIfLj2EEffffjfiS5_IjLj3EEiiiiiiiiiiiliiliiiiil,"axG",@progbits,_ZL15flash_attn_tileILi192ELi128ELi1ELi16ELb1EEvPKcS1_S1_S1_S1_PKiPfP15HIP_vector_typeIfLj2EEffffjfiS5_IjLj3EEiiiiiiiiiiiliiliiiiil,comdat
.Lfunc_end20:
	.size	_ZL15flash_attn_tileILi192ELi128ELi1ELi16ELb1EEvPKcS1_S1_S1_S1_PKiPfP15HIP_vector_typeIfLj2EEffffjfiS5_IjLj3EEiiiiiiiiiiiliiliiiiil, .Lfunc_end20-_ZL15flash_attn_tileILi192ELi128ELi1ELi16ELb1EEvPKcS1_S1_S1_S1_PKiPfP15HIP_vector_typeIfLj2EEffffjfiS5_IjLj3EEiiiiiiiiiiiliiliiiiil
                                        ; -- End function
	.set _ZL15flash_attn_tileILi192ELi128ELi1ELi16ELb1EEvPKcS1_S1_S1_S1_PKiPfP15HIP_vector_typeIfLj2EEffffjfiS5_IjLj3EEiiiiiiiiiiiliiliiiiil.num_vgpr, 87
	.set _ZL15flash_attn_tileILi192ELi128ELi1ELi16ELb1EEvPKcS1_S1_S1_S1_PKiPfP15HIP_vector_typeIfLj2EEffffjfiS5_IjLj3EEiiiiiiiiiiiliiliiiiil.num_agpr, 0
	.set _ZL15flash_attn_tileILi192ELi128ELi1ELi16ELb1EEvPKcS1_S1_S1_S1_PKiPfP15HIP_vector_typeIfLj2EEffffjfiS5_IjLj3EEiiiiiiiiiiiliiliiiiil.numbered_sgpr, 44
	.set _ZL15flash_attn_tileILi192ELi128ELi1ELi16ELb1EEvPKcS1_S1_S1_S1_PKiPfP15HIP_vector_typeIfLj2EEffffjfiS5_IjLj3EEiiiiiiiiiiiliiliiiiil.num_named_barrier, 0
	.set _ZL15flash_attn_tileILi192ELi128ELi1ELi16ELb1EEvPKcS1_S1_S1_S1_PKiPfP15HIP_vector_typeIfLj2EEffffjfiS5_IjLj3EEiiiiiiiiiiiliiliiiiil.private_seg_size, 0
	.set _ZL15flash_attn_tileILi192ELi128ELi1ELi16ELb1EEvPKcS1_S1_S1_S1_PKiPfP15HIP_vector_typeIfLj2EEffffjfiS5_IjLj3EEiiiiiiiiiiiliiliiiiil.uses_vcc, 1
	.set _ZL15flash_attn_tileILi192ELi128ELi1ELi16ELb1EEvPKcS1_S1_S1_S1_PKiPfP15HIP_vector_typeIfLj2EEffffjfiS5_IjLj3EEiiiiiiiiiiiliiliiiiil.uses_flat_scratch, 0
	.set _ZL15flash_attn_tileILi192ELi128ELi1ELi16ELb1EEvPKcS1_S1_S1_S1_PKiPfP15HIP_vector_typeIfLj2EEffffjfiS5_IjLj3EEiiiiiiiiiiiliiliiiiil.has_dyn_sized_stack, 0
	.set _ZL15flash_attn_tileILi192ELi128ELi1ELi16ELb1EEvPKcS1_S1_S1_S1_PKiPfP15HIP_vector_typeIfLj2EEffffjfiS5_IjLj3EEiiiiiiiiiiiliiliiiiil.has_recursion, 0
	.set _ZL15flash_attn_tileILi192ELi128ELi1ELi16ELb1EEvPKcS1_S1_S1_S1_PKiPfP15HIP_vector_typeIfLj2EEffffjfiS5_IjLj3EEiiiiiiiiiiiliiliiiiil.has_indirect_call, 0
	.section	.AMDGPU.csdata,"",@progbits
; Kernel info:
; codeLenInByte = 10712
; TotalNumSgprs: 50
; NumVgprs: 87
; NumAgprs: 0
; TotalNumVgprs: 87
; ScratchSize: 0
; MemoryBound: 0
; FloatMode: 240
; IeeeMode: 1
; LDSByteSize: 11776 bytes/workgroup (compile time only)
; SGPRBlocks: 6
; VGPRBlocks: 10
; NumSGPRsForWavesPerEU: 50
; NumVGPRsForWavesPerEU: 87
; AccumOffset: 88
; Occupancy: 5
; WaveLimiterHint : 1
; COMPUTE_PGM_RSRC2:SCRATCH_EN: 0
; COMPUTE_PGM_RSRC2:USER_SGPR: 2
; COMPUTE_PGM_RSRC2:TRAP_HANDLER: 0
; COMPUTE_PGM_RSRC2:TGID_X_EN: 1
; COMPUTE_PGM_RSRC2:TGID_Y_EN: 1
; COMPUTE_PGM_RSRC2:TGID_Z_EN: 1
; COMPUTE_PGM_RSRC2:TIDIG_COMP_CNT: 1
; COMPUTE_PGM_RSRC3_GFX90A:ACCUM_OFFSET: 21
; COMPUTE_PGM_RSRC3_GFX90A:TG_SPLIT: 0
	.section	.text._ZL15flash_attn_tileILi192ELi128ELi4ELi8ELb1EEvPKcS1_S1_S1_S1_PKiPfP15HIP_vector_typeIfLj2EEffffjfiS5_IjLj3EEiiiiiiiiiiiliiliiiiil,"axG",@progbits,_ZL15flash_attn_tileILi192ELi128ELi4ELi8ELb1EEvPKcS1_S1_S1_S1_PKiPfP15HIP_vector_typeIfLj2EEffffjfiS5_IjLj3EEiiiiiiiiiiiliiliiiiil,comdat
	.globl	_ZL15flash_attn_tileILi192ELi128ELi4ELi8ELb1EEvPKcS1_S1_S1_S1_PKiPfP15HIP_vector_typeIfLj2EEffffjfiS5_IjLj3EEiiiiiiiiiiiliiliiiiil ; -- Begin function _ZL15flash_attn_tileILi192ELi128ELi4ELi8ELb1EEvPKcS1_S1_S1_S1_PKiPfP15HIP_vector_typeIfLj2EEffffjfiS5_IjLj3EEiiiiiiiiiiiliiliiiiil
	.p2align	8
	.type	_ZL15flash_attn_tileILi192ELi128ELi4ELi8ELb1EEvPKcS1_S1_S1_S1_PKiPfP15HIP_vector_typeIfLj2EEffffjfiS5_IjLj3EEiiiiiiiiiiiliiliiiiil,@function
_ZL15flash_attn_tileILi192ELi128ELi4ELi8ELb1EEvPKcS1_S1_S1_S1_PKiPfP15HIP_vector_typeIfLj2EEffffjfiS5_IjLj3EEiiiiiiiiiiiliiliiiiil: ; @_ZL15flash_attn_tileILi192ELi128ELi4ELi8ELb1EEvPKcS1_S1_S1_S1_PKiPfP15HIP_vector_typeIfLj2EEffffjfiS5_IjLj3EEiiiiiiiiiiiliiliiiiil
; %bb.0:
	s_load_dwordx4 s[20:23], s[0:1], 0x5c
	s_load_dwordx2 s[28:29], s[0:1], 0x80
	s_load_dwordx2 s[34:35], s[0:1], 0xb8
	s_mov_b64 s[30:31], 0
	s_waitcnt lgkmcnt(0)
	s_ashr_i32 s5, s23, 31
	s_lshr_b32 s5, s5, 29
	s_add_i32 s5, s23, s5
	s_ashr_i32 s5, s5, 3
	v_cvt_f32_u32_e32 v1, s5
	s_sub_i32 s6, 0, s5
	v_rcp_iflag_f32_e32 v1, v1
	s_nop 0
	v_mul_f32_e32 v1, 0x4f7ffffe, v1
	v_cvt_u32_f32_e32 v1, v1
	s_nop 0
	v_readfirstlane_b32 s7, v1
	s_mul_i32 s6, s6, s7
	s_mul_hi_u32 s6, s7, s6
	s_add_i32 s7, s7, s6
	s_mul_hi_u32 s6, s4, s7
	s_mul_i32 s7, s6, s5
	s_sub_i32 s7, s4, s7
	s_add_i32 s8, s6, 1
	s_sub_i32 s9, s7, s5
	s_cmp_ge_u32 s7, s5
	s_cselect_b32 s6, s8, s6
	s_cselect_b32 s7, s9, s7
	s_add_i32 s8, s6, 1
	s_cmp_ge_u32 s7, s5
	s_cselect_b32 s33, s8, s6
	s_abs_i32 s5, s29
	v_cvt_f32_u32_e32 v1, s5
	s_lshl_b32 s4, s4, 3
	s_mul_i32 s8, s33, s23
	s_xor_b32 s6, s23, s29
	v_rcp_iflag_f32_e32 v1, v1
	s_sub_i32 s9, 0, s5
	s_sub_i32 s29, s4, s8
	s_abs_i32 s7, s23
	v_mul_f32_e32 v1, 0x4f7ffffe, v1
	v_cvt_u32_f32_e32 v1, v1
	s_ashr_i32 s6, s6, 31
	v_readfirstlane_b32 s4, v1
	s_mul_i32 s9, s9, s4
	s_mul_hi_u32 s8, s4, s9
	s_add_i32 s4, s4, s8
	s_mul_hi_u32 s4, s7, s4
	s_mul_i32 s8, s4, s5
	s_sub_i32 s7, s7, s8
	s_add_i32 s9, s4, 1
	s_sub_i32 s8, s7, s5
	s_cmp_ge_u32 s7, s5
	s_cselect_b32 s4, s9, s4
	s_cselect_b32 s7, s8, s7
	s_add_i32 s8, s4, 1
	s_cmp_ge_u32 s7, s5
	s_cselect_b32 s4, s8, s4
	s_xor_b32 s4, s4, s6
	s_sub_i32 s37, s4, s6
	s_abs_i32 s36, s37
	v_cvt_f32_u32_e32 v1, s36
	s_load_dwordx16 s[4:19], s[0:1], 0x0
	v_rcp_iflag_f32_e32 v1, v1
	s_waitcnt lgkmcnt(0)
	s_cmp_eq_u64 s[10:11], 0
	v_mul_f32_e32 v1, 0x4f7ffffe, v1
	v_cvt_u32_f32_e32 v1, v1
	s_nop 0
	v_readfirstlane_b32 s24, v1
	s_cbranch_scc1 .LBB21_2
; %bb.1:
	s_abs_i32 s25, s34
	v_cvt_f32_u32_e32 v1, s25
	s_sub_i32 s34, 0, s25
	s_abs_i32 s31, s33
	s_ashr_i32 s30, s33, 31
	v_rcp_iflag_f32_e32 v1, v1
	s_load_dwordx2 s[26:27], s[0:1], 0xc8
	v_mul_f32_e32 v1, 0x4f7ffffe, v1
	v_cvt_u32_f32_e32 v1, v1
	s_nop 0
	v_readfirstlane_b32 s38, v1
	s_mul_i32 s34, s34, s38
	s_mul_hi_u32 s34, s38, s34
	s_add_i32 s38, s38, s34
	s_mul_hi_u32 s34, s31, s38
	s_mul_i32 s34, s34, s25
	s_sub_i32 s31, s31, s34
	s_sub_i32 s34, s31, s25
	s_cmp_ge_u32 s31, s25
	s_cselect_b32 s31, s34, s31
	s_sub_i32 s34, s31, s25
	s_cmp_ge_u32 s31, s25
	s_cselect_b32 s25, s34, s31
	s_xor_b32 s25, s25, s30
	s_sub_i32 s25, s25, s30
	s_ashr_i32 s30, s25, 31
	s_waitcnt lgkmcnt(0)
	s_mul_hi_u32 s31, s26, s25
	s_mul_i32 s30, s26, s30
	s_mul_i32 s27, s27, s25
	s_add_i32 s30, s31, s30
	s_add_i32 s27, s30, s27
	s_mul_i32 s25, s26, s25
	s_add_u32 s30, s10, s25
	s_addc_u32 s31, s11, s27
.LBB21_2:
	s_load_dwordx4 s[40:43], s[0:1], 0x70
	v_lshrrev_b32_e32 v1, 10, v0
	v_bfe_u32 v1, v1, 1, 9
	v_lshl_add_u32 v5, s2, 2, v1
	v_bfe_u32 v8, v0, 10, 10
	s_waitcnt lgkmcnt(0)
	s_mul_i32 s10, s33, s42
	s_ashr_i32 s25, s10, 31
	s_mul_i32 s11, s29, s41
	s_add_u32 s4, s4, s10
	v_and_b32_e32 v4, 0x3ff, v0
	v_mul_hi_u32 v0, s20, v5
	s_addc_u32 s5, s5, s25
	s_ashr_i32 s10, s11, 31
	v_add_u32_e32 v0, v5, v0
	s_add_u32 s4, s4, s11
	v_lshrrev_b32_e32 v0, s21, v0
	s_addc_u32 s5, s5, s10
	s_ashr_i32 s27, s41, 31
	s_mov_b32 s26, s41
	v_mul_lo_u32 v0, v0, s22
	s_ashr_i32 s41, s40, 31
	v_sub_u32_e32 v9, v5, v0
	s_lshr_b64 s[20:21], s[40:41], 2
	v_mad_u64_u32 v[0:1], s[20:21], s20, v9, 0
	v_mov_b32_e32 v2, v1
	s_lshr_b32 s20, s41, 2
	v_mad_u64_u32 v[2:3], s[20:21], s20, v9, v[2:3]
	v_lshlrev_b32_e32 v7, 2, v8
	v_mov_b32_e32 v1, v2
	s_lshr_b64 s[10:11], s[26:27], 2
	v_lshl_add_u64 v[0:1], v[0:1], 2, s[4:5]
	v_lshlrev_b32_e32 v2, 4, v4
	v_mov_b32_e32 v3, 0
	v_and_b32_e32 v18, 4, v7
	v_lshl_add_u64 v[0:1], v[0:1], 0, v[2:3]
	v_mul_i32_i24_e32 v6, s27, v18
	v_mad_u64_u32 v[2:3], s[4:5], s10, v18, 0
	v_or_b32_e32 v3, v3, v6
	v_lshl_add_u64 v[2:3], v[2:3], 2, v[0:1]
	global_load_dwordx4 v[10:13], v[2:3], off
	s_load_dword s4, s[0:1], 0x40
	s_movk_i32 s5, 0x600
	v_lshlrev_b32_e32 v20, 3, v4
	v_mad_u32_u24 v6, v8, s5, v20
	v_mul_u32_u24_e32 v21, 0x600, v8
	s_waitcnt lgkmcnt(0)
	s_mov_b32 s5, s4
	v_cmp_gt_u32_e32 vcc, 16, v4
	s_waitcnt vmcnt(0)
	v_fma_mixlo_f16 v14, s4, v10, 0
	v_mov_b32_e32 v10, v13
	v_pk_mul_f32 v[10:11], s[4:5], v[10:11] op_sel_hi:[0,1]
	v_cvt_pk_f16_f32 v10, v10, v11
	v_fma_mixlo_f16 v12, s4, v12, 0
	v_and_b32_e32 v13, 0xffff, v14
	v_lshlrev_b32_e32 v11, 16, v10
	v_and_b32_e32 v10, 0xffff0000, v10
	v_and_b32_e32 v12, 0xffff, v12
	v_or_b32_e32 v10, v10, v13
	v_or3_b32 v11, v11, v12, 0
	v_or3_b32 v10, 0, 0, v10
	ds_write_b64 v6, v[10:11]
	s_and_saveexec_b64 s[20:21], vcc
	s_cbranch_execz .LBB21_4
; %bb.3:
	global_load_dwordx4 v[10:13], v[2:3], off offset:512
	s_waitcnt vmcnt(0)
	v_fma_mixlo_f16 v2, s4, v10, 0
	v_fma_mixlo_f16 v3, s4, v12, 0
	v_mov_b32_e32 v10, v13
	v_and_b32_e32 v6, 0xffff, v2
	v_and_b32_e32 v12, 0xffff, v3
	v_pk_mul_f32 v[2:3], s[4:5], v[10:11]
	s_nop 0
	v_cvt_pk_f16_f32 v2, v2, v3
	v_lshlrev_b32_e32 v3, 16, v2
	v_and_b32_e32 v2, 0xffff0000, v2
	v_or_b32_e32 v2, v2, v6
	v_or3_b32 v3, v3, v12, 0
	v_or3_b32 v2, 0, 0, v2
	v_add_u32_e32 v6, v20, v21
	ds_write_b64 v6, v[2:3] offset:256
.LBB21_4:
	s_or_b64 exec, exec, s[20:21]
	v_bitop3_b32 v10, v7, 5, 1 bitop3:0xc8
	v_mad_u64_u32 v[2:3], s[20:21], s10, v10, 0
	v_mov_b32_e32 v6, v3
	v_mad_u64_u32 v[10:11], s[20:21], s11, v10, v[6:7]
	v_mov_b32_e32 v3, v10
	v_lshl_add_u64 v[2:3], v[2:3], 2, v[0:1]
	global_load_dwordx4 v[10:13], v[2:3], off
	v_or_b32_e32 v6, 1, v7
	s_movk_i32 s20, 0x180
	v_mul_u32_u24_e32 v14, 0x180, v6
	v_mad_u32_u24 v6, v6, s20, v20
	s_waitcnt vmcnt(0)
	v_fma_mixlo_f16 v15, s4, v10, 0
	v_mov_b32_e32 v10, v13
	v_pk_mul_f32 v[10:11], s[4:5], v[10:11]
	v_fma_mixlo_f16 v12, s4, v12, 0
	v_cvt_pk_f16_f32 v10, v10, v11
	v_and_b32_e32 v13, 0xffff, v15
	v_lshlrev_b32_e32 v11, 16, v10
	v_and_b32_e32 v10, 0xffff0000, v10
	v_and_b32_e32 v12, 0xffff, v12
	v_or_b32_e32 v10, v10, v13
	v_or3_b32 v11, v11, v12, 0
	v_or3_b32 v10, 0, 0, v10
	ds_write_b64 v6, v[10:11]
	v_add_u32_e32 v6, v20, v14
	s_and_saveexec_b64 s[20:21], vcc
	s_cbranch_execz .LBB21_6
; %bb.5:
	global_load_dwordx4 v[10:13], v[2:3], off offset:512
	s_waitcnt vmcnt(0)
	v_fma_mixlo_f16 v2, s4, v10, 0
	v_fma_mixlo_f16 v3, s4, v12, 0
	v_mov_b32_e32 v10, v13
	v_and_b32_e32 v12, 0xffff, v2
	v_and_b32_e32 v13, 0xffff, v3
	v_pk_mul_f32 v[2:3], s[4:5], v[10:11]
	s_nop 0
	v_cvt_pk_f16_f32 v2, v2, v3
	v_lshlrev_b32_e32 v3, 16, v2
	v_and_b32_e32 v2, 0xffff0000, v2
	v_or_b32_e32 v2, v2, v12
	v_or3_b32 v3, v3, v13, 0
	v_or3_b32 v2, 0, 0, v2
	ds_write_b64 v6, v[2:3] offset:256
.LBB21_6:
	s_or_b64 exec, exec, s[20:21]
	v_bitop3_b32 v11, v7, 6, 2 bitop3:0xc8
	v_mad_u64_u32 v[2:3], s[20:21], s10, v11, 0
	v_mov_b32_e32 v10, v3
	v_mad_u64_u32 v[10:11], s[20:21], s11, v11, v[10:11]
	v_mov_b32_e32 v3, v10
	v_lshl_add_u64 v[2:3], v[2:3], 2, v[0:1]
	global_load_dwordx4 v[10:13], v[2:3], off
	s_waitcnt vmcnt(0)
	v_fma_mixlo_f16 v14, s4, v10, 0
	v_mov_b32_e32 v10, v13
	v_pk_mul_f32 v[10:11], s[4:5], v[10:11]
	v_fma_mixlo_f16 v12, s4, v12, 0
	v_cvt_pk_f16_f32 v10, v10, v11
	v_and_b32_e32 v13, 0xffff, v14
	v_lshlrev_b32_e32 v11, 16, v10
	v_and_b32_e32 v10, 0xffff0000, v10
	v_and_b32_e32 v12, 0xffff, v12
	v_or_b32_e32 v10, v10, v13
	v_or3_b32 v11, v11, v12, 0
	v_or3_b32 v10, 0, 0, v10
	ds_write_b64 v6, v[10:11] offset:384
	s_and_saveexec_b64 s[20:21], vcc
	s_cbranch_execz .LBB21_8
; %bb.7:
	global_load_dwordx4 v[10:13], v[2:3], off offset:512
	s_waitcnt vmcnt(0)
	v_fma_mixlo_f16 v2, s4, v10, 0
	v_fma_mixlo_f16 v3, s4, v12, 0
	v_mov_b32_e32 v10, v13
	v_and_b32_e32 v12, 0xffff, v2
	v_and_b32_e32 v13, 0xffff, v3
	v_pk_mul_f32 v[2:3], s[4:5], v[10:11]
	s_nop 0
	v_cvt_pk_f16_f32 v2, v2, v3
	v_lshlrev_b32_e32 v3, 16, v2
	v_and_b32_e32 v2, 0xffff0000, v2
	v_or_b32_e32 v2, v2, v12
	v_or3_b32 v3, v3, v13, 0
	v_or3_b32 v2, 0, 0, v2
	ds_write_b64 v6, v[2:3] offset:640
.LBB21_8:
	s_or_b64 exec, exec, s[20:21]
	v_bitop3_b32 v11, v7, 7, 3 bitop3:0xc8
	v_mad_u64_u32 v[2:3], s[20:21], s10, v11, 0
	v_mov_b32_e32 v10, v3
	v_mad_u64_u32 v[10:11], s[10:11], s11, v11, v[10:11]
	v_mov_b32_e32 v3, v10
	v_lshl_add_u64 v[0:1], v[2:3], 2, v[0:1]
	global_load_dwordx4 v[10:13], v[0:1], off
	s_waitcnt vmcnt(0)
	v_fma_mixlo_f16 v2, s4, v10, 0
	v_fma_mixlo_f16 v3, s4, v12, 0
	v_mov_b32_e32 v10, v13
	v_and_b32_e32 v12, 0xffff, v2
	v_and_b32_e32 v13, 0xffff, v3
	v_pk_mul_f32 v[2:3], s[4:5], v[10:11]
	s_nop 0
	v_cvt_pk_f16_f32 v2, v2, v3
	v_lshlrev_b32_e32 v3, 16, v2
	v_and_b32_e32 v2, 0xffff0000, v2
	v_or_b32_e32 v2, v2, v12
	v_or3_b32 v3, v3, v13, 0
	v_or3_b32 v2, 0, 0, v2
	ds_write_b64 v6, v[2:3] offset:768
	s_and_saveexec_b64 s[10:11], vcc
	s_cbranch_execz .LBB21_10
; %bb.9:
	global_load_dwordx4 v[0:3], v[0:1], off offset:512
	s_waitcnt vmcnt(0)
	v_fma_mixlo_f16 v10, s4, v0, 0
	v_mov_b32_e32 v0, v3
	v_pk_mul_f32 v[0:1], s[4:5], v[0:1]
	v_fma_mixlo_f16 v2, s4, v2, 0
	v_cvt_pk_f16_f32 v0, v0, v1
	v_and_b32_e32 v3, 0xffff, v10
	v_lshlrev_b32_e32 v1, 16, v0
	v_and_b32_e32 v0, 0xffff0000, v0
	v_and_b32_e32 v2, 0xffff, v2
	v_or_b32_e32 v0, v0, v3
	v_or3_b32 v1, v1, v2, 0
	v_or3_b32 v0, 0, 0, v0
	ds_write_b64 v6, v[0:1] offset:1024
.LBB21_10:
	s_or_b64 exec, exec, s[10:11]
	s_cmp_eq_u64 s[14:15], 0
	s_waitcnt lgkmcnt(0)
	s_barrier
	s_cbranch_scc1 .LBB21_12
; %bb.11:
	s_load_dword s4, s[0:1], 0xd0
	s_mov_b32 s5, 0
	s_waitcnt lgkmcnt(0)
	s_mul_i32 s4, s4, s33
	s_add_i32 s4, s4, s2
	s_lshl_b64 s[4:5], s[4:5], 2
	s_add_u32 s4, s14, s4
	s_addc_u32 s5, s15, s5
	s_load_dword s28, s[4:5], 0x0
.LBB21_12:
	s_lshl_b32 s2, s3, 5
	s_waitcnt lgkmcnt(0)
	s_cmp_lt_i32 s2, s28
	v_mbcnt_lo_u32_b32 v0, -1, 0
	s_cbranch_scc1 .LBB21_35
; %bb.13:
	v_mbcnt_hi_u32_b32 v6, -1, v0
	v_and_b32_e32 v1, 0x60, v6
	v_add_u32_e32 v40, 32, v1
	v_xor_b32_e32 v41, 16, v6
	v_xor_b32_e32 v43, 8, v6
	;; [unrolled: 1-line block ×5, first 2 shown]
	v_lshlrev_b32_e32 v19, 2, v4
	s_cbranch_execz .LBB21_36
; %bb.14:
	v_mov_b32_e32 v9, 0
	v_mov_b32_e32 v31, 0
	;; [unrolled: 1-line block ×16, first 2 shown]
.LBB21_15:
	v_cmp_lt_i32_e32 vcc, v41, v40
	s_cmp_lg_u64 s[12:13], 0
	s_cselect_b64 s[4:5], -1, 0
	v_cndmask_b32_e32 v12, v6, v41, vcc
	v_cmp_lt_i32_e32 vcc, v43, v40
	v_lshlrev_b32_e32 v14, 2, v12
	ds_bpermute_b32 v13, v14, v11
	v_cndmask_b32_e32 v12, v6, v43, vcc
	v_cmp_lt_i32_e32 vcc, v44, v40
	v_lshlrev_b32_e32 v20, 2, v12
	ds_bpermute_b32 v16, v14, v8
	v_cndmask_b32_e32 v12, v6, v44, vcc
	v_lshlrev_b32_e32 v21, 2, v12
	ds_bpermute_b32 v12, v14, v10
	ds_bpermute_b32 v17, v14, v9
	v_cmp_lt_i32_e32 vcc, v42, v40
	s_cmp_eq_u32 s3, 0
	s_cselect_b64 s[6:7], -1, 0
	s_waitcnt lgkmcnt(1)
	v_pk_add_f32 v[10:11], v[10:11], v[12:13]
	s_waitcnt lgkmcnt(0)
	v_pk_add_f32 v[8:9], v[8:9], v[16:17]
	ds_bpermute_b32 v12, v20, v10
	ds_bpermute_b32 v13, v20, v11
	;; [unrolled: 1-line block ×4, first 2 shown]
	v_cndmask_b32_e32 v14, v6, v42, vcc
	v_lshlrev_b32_e32 v14, 2, v14
	s_waitcnt lgkmcnt(2)
	v_pk_add_f32 v[10:11], v[10:11], v[12:13]
	ds_bpermute_b32 v12, v21, v10
	s_waitcnt lgkmcnt(1)
	v_pk_add_f32 v[8:9], v[8:9], v[16:17]
	ds_bpermute_b32 v13, v21, v11
	ds_bpermute_b32 v16, v21, v8
	ds_bpermute_b32 v17, v21, v9
	v_cmp_lt_i32_e32 vcc, v39, v40
	s_and_b64 s[4:5], s[6:7], s[4:5]
	s_waitcnt lgkmcnt(2)
	v_pk_add_f32 v[10:11], v[10:11], v[12:13]
	ds_bpermute_b32 v12, v14, v10
	s_waitcnt lgkmcnt(1)
	v_pk_add_f32 v[8:9], v[8:9], v[16:17]
	ds_bpermute_b32 v13, v14, v11
	ds_bpermute_b32 v16, v14, v8
	;; [unrolled: 1-line block ×3, first 2 shown]
	v_cndmask_b32_e32 v6, v6, v39, vcc
	v_lshlrev_b32_e32 v6, 2, v6
	s_waitcnt lgkmcnt(2)
	v_pk_add_f32 v[10:11], v[10:11], v[12:13]
	ds_bpermute_b32 v12, v6, v10
	s_waitcnt lgkmcnt(1)
	v_pk_add_f32 v[8:9], v[8:9], v[16:17]
	ds_bpermute_b32 v13, v6, v11
	ds_bpermute_b32 v16, v6, v8
	;; [unrolled: 1-line block ×3, first 2 shown]
	s_and_b64 vcc, exec, s[4:5]
	s_waitcnt lgkmcnt(2)
	v_pk_add_f32 v[10:11], v[10:11], v[12:13]
	s_waitcnt lgkmcnt(0)
	v_pk_add_f32 v[8:9], v[8:9], v[16:17]
	s_cbranch_vccz .LBB21_17
; %bb.16:
	v_add_u32_e32 v12, s29, v18
	v_ashrrev_i32_e32 v13, 31, v12
	v_lshl_add_u64 v[12:13], v[12:13], 2, s[12:13]
	global_load_dwordx4 v[34:37], v[12:13], off
	v_max_f32_e32 v6, v0, v0
	v_max_f32_e32 v12, v1, v1
	s_mov_b32 s5, 0x3fb8aa3b
	v_max_f32_e32 v13, v2, v2
	s_mov_b32 s2, 0xc2ce8ed0
	s_mov_b32 s4, 0x42b17218
	v_mov_b32_e32 v14, 0x7f800000
	s_waitcnt vmcnt(0)
	v_max_f32_e32 v16, v34, v34
	v_max_f32_e32 v38, v6, v16
	;; [unrolled: 1-line block ×3, first 2 shown]
	v_sub_f32_e32 v0, v0, v38
	v_max_f32_e32 v39, v12, v17
	v_sub_f32_e32 v6, v34, v38
	v_mul_f32_e32 v12, 0x3fb8aa3b, v0
	v_max_f32_e32 v20, v36, v36
	v_sub_f32_e32 v1, v1, v39
	v_mul_f32_e32 v17, 0x3fb8aa3b, v6
	v_fma_f32 v25, v0, s5, -v12
	v_rndne_f32_e32 v26, v12
	v_max_f32_e32 v40, v13, v20
	v_sub_f32_e32 v13, v35, v39
	v_mul_f32_e32 v20, 0x3fb8aa3b, v1
	v_fma_f32 v28, v6, s5, -v17
	v_rndne_f32_e32 v30, v17
	v_fmac_f32_e32 v25, 0x32a5705f, v0
	v_sub_f32_e32 v12, v12, v26
	v_sub_f32_e32 v2, v2, v40
	v_mul_f32_e32 v21, 0x3fb8aa3b, v13
	v_fma_f32 v34, v1, s5, -v20
	v_rndne_f32_e32 v35, v20
	v_fmac_f32_e32 v28, 0x32a5705f, v6
	v_sub_f32_e32 v17, v17, v30
	v_add_f32_e32 v12, v12, v25
	v_sub_f32_e32 v16, v36, v40
	v_mul_f32_e32 v23, 0x3fb8aa3b, v2
	v_fma_f32 v36, v13, s5, -v21
	v_rndne_f32_e32 v41, v21
	v_cvt_i32_f32_e32 v26, v26
	v_fmac_f32_e32 v34, 0x32a5705f, v1
	v_sub_f32_e32 v20, v20, v35
	v_add_f32_e32 v17, v17, v28
	v_exp_f32_e32 v12, v12
	v_fma_f32 v42, v2, s5, -v23
	v_rndne_f32_e32 v43, v23
	v_cvt_i32_f32_e32 v30, v30
	v_fmac_f32_e32 v36, 0x32a5705f, v13
	v_sub_f32_e32 v21, v21, v41
	v_add_f32_e32 v20, v20, v34
	v_exp_f32_e32 v17, v17
	v_cvt_i32_f32_e32 v35, v35
	v_fmac_f32_e32 v42, 0x32a5705f, v2
	v_sub_f32_e32 v23, v23, v43
	v_add_f32_e32 v21, v21, v36
	v_exp_f32_e32 v20, v20
	v_cvt_i32_f32_e32 v41, v41
	v_add_f32_e32 v23, v23, v42
	v_exp_f32_e32 v21, v21
	v_cvt_i32_f32_e32 v43, v43
	v_exp_f32_e32 v23, v23
	v_ldexp_f32 v12, v12, v26
	v_cmp_ngt_f32_e32 vcc, s2, v0
	v_ldexp_f32 v17, v17, v30
	v_ldexp_f32 v20, v20, v35
	v_cndmask_b32_e32 v12, 0, v12, vcc
	v_cmp_ngt_f32_e32 vcc, s2, v6
	v_ldexp_f32 v21, v21, v41
	v_ldexp_f32 v23, v23, v43
	v_cndmask_b32_e32 v17, 0, v17, vcc
	v_cmp_ngt_f32_e32 vcc, s2, v1
	v_mul_f32_e32 v24, 0x3fb8aa3b, v16
	v_fma_f32 v44, v16, s5, -v24
	v_cndmask_b32_e32 v20, 0, v20, vcc
	v_cmp_ngt_f32_e32 vcc, s2, v13
	v_rndne_f32_e32 v45, v24
	v_fmac_f32_e32 v44, 0x32a5705f, v16
	v_cndmask_b32_e32 v21, 0, v21, vcc
	v_cmp_ngt_f32_e32 vcc, s2, v2
	v_sub_f32_e32 v24, v24, v45
	v_add_f32_e32 v24, v24, v44
	v_cndmask_b32_e32 v23, 0, v23, vcc
	v_cmp_nlt_f32_e32 vcc, s4, v0
	v_cvt_i32_f32_e32 v45, v45
	v_exp_f32_e32 v24, v24
	v_cndmask_b32_e32 v0, v14, v12, vcc
	v_cmp_nlt_f32_e32 vcc, s4, v6
	v_cvt_f16_f32_e32 v6, v0
	v_mul_u32_u24_e32 v6, 0x10001, v6
	v_cndmask_b32_e32 v12, v14, v17, vcc
	v_cmp_nlt_f32_e32 vcc, s4, v1
	v_pk_mul_f16 v31, v31, v6
	v_pk_mul_f16 v33, v33, v6
	v_cndmask_b32_e32 v1, v14, v20, vcc
	v_cvt_f16_f32_e32 v17, v1
	v_max_f32_e32 v20, v3, v3
	v_cmp_nlt_f32_e32 vcc, s4, v13
	v_ldexp_f32 v6, v24, v45
	v_mul_u32_u24_e32 v17, 0x10001, v17
	v_pk_mul_f16 v29, v29, v17
	v_pk_mul_f16 v32, v32, v17
	v_max_f32_e32 v17, v37, v37
	v_max_f32_e32 v41, v20, v17
	v_sub_f32_e32 v3, v3, v41
	v_cndmask_b32_e32 v13, v14, v21, vcc
	v_cmp_nlt_f32_e32 vcc, s4, v2
	v_mul_f32_e32 v17, 0x3fb8aa3b, v3
	v_fma_f32 v20, v3, s5, -v17
	v_cndmask_b32_e32 v2, v14, v23, vcc
	v_cmp_ngt_f32_e32 vcc, s2, v16
	v_rndne_f32_e32 v21, v17
	v_fmac_f32_e32 v20, 0x32a5705f, v3
	v_cndmask_b32_e32 v6, 0, v6, vcc
	v_cmp_nlt_f32_e32 vcc, s4, v16
	v_sub_f32_e32 v17, v17, v21
	v_add_f32_e32 v17, v17, v20
	v_cndmask_b32_e32 v16, v14, v6, vcc
	v_cvt_f16_f32_e32 v6, v2
	v_exp_f32_e32 v17, v17
	v_cvt_i32_f32_e32 v20, v21
	v_cmp_ngt_f32_e32 vcc, s2, v3
	v_mul_u32_u24_e32 v6, 0x10001, v6
	v_pk_mul_f16 v22, v22, v6
	v_pk_mul_f16 v27, v27, v6
	v_ldexp_f32 v6, v17, v20
	v_sub_f32_e32 v17, v37, v41
	v_mul_f32_e32 v20, 0x3fb8aa3b, v17
	v_fma_f32 v21, v17, s5, -v20
	v_rndne_f32_e32 v23, v20
	v_fmac_f32_e32 v21, 0x32a5705f, v17
	v_sub_f32_e32 v20, v20, v23
	v_add_f32_e32 v20, v20, v21
	v_exp_f32_e32 v20, v20
	v_cvt_i32_f32_e32 v21, v23
	v_cndmask_b32_e32 v6, 0, v6, vcc
	v_cmp_nlt_f32_e32 vcc, s4, v3
	v_pk_fma_f32 v[10:11], v[10:11], v[0:1], v[12:13]
	s_nop 0
	v_cndmask_b32_e32 v3, v14, v6, vcc
	v_ldexp_f32 v6, v20, v21
	v_cvt_f16_f32_e32 v20, v3
	v_cmp_ngt_f32_e32 vcc, s2, v17
	s_nop 1
	v_cndmask_b32_e32 v6, 0, v6, vcc
	v_cmp_nlt_f32_e32 vcc, s4, v17
	s_nop 1
	v_cndmask_b32_e32 v17, v14, v6, vcc
	v_mul_u32_u24_e32 v6, 0x10001, v20
	v_pk_fma_f32 v[8:9], v[8:9], v[2:3], v[16:17]
	v_mov_b64_e32 v[0:1], v[38:39]
	v_pk_mul_f16 v15, v15, v6
	v_pk_mul_f16 v7, v7, v6
	v_mov_b64_e32 v[2:3], v[40:41]
.LBB21_17:
	v_cmp_gt_i32_e32 vcc, s22, v5
	s_and_saveexec_b64 s[4:5], vcc
	s_cbranch_execz .LBB21_34
; %bb.18:
	s_load_dword s8, s[0:1], 0xd4
	v_mov_b32_e32 v6, 1.0
	s_waitcnt lgkmcnt(0)
	s_cmp_lg_u32 s8, 1
	s_cselect_b64 s[0:1], -1, 0
	s_cmp_eq_u32 s8, 1
	s_cselect_b64 s[6:7], -1, 0
	s_and_b64 vcc, exec, s[0:1]
	s_cbranch_vccnz .LBB21_20
; %bb.19:
	v_div_scale_f32 v6, s[4:5], v10, v10, 1.0
	v_rcp_f32_e32 v12, v6
	v_div_scale_f32 v13, vcc, 1.0, v10, 1.0
	v_fma_f32 v14, -v6, v12, 1.0
	v_fmac_f32_e32 v12, v14, v12
	v_mul_f32_e32 v14, v13, v12
	v_fma_f32 v16, -v6, v14, v13
	v_fmac_f32_e32 v14, v16, v12
	v_fma_f32 v6, -v6, v14, v13
	v_div_fmas_f32 v6, v6, v12, v14
	v_div_fixup_f32 v6, v6, v10, 1.0
.LBB21_20:
	s_mul_i32 s33, s33, s22
	v_add_u32_e32 v5, s33, v5
	v_mul_lo_u32 v5, v5, s23
	v_add3_u32 v5, s29, v18, v5
	v_cvt_f32_f16_sdwa v17, v31 dst_sel:DWORD dst_unused:UNUSED_PAD src0_sel:WORD_1
	v_cvt_f32_f16_e32 v16, v31
	v_cvt_f32_f16_sdwa v21, v33 dst_sel:DWORD dst_unused:UNUSED_PAD src0_sel:WORD_1
	v_cvt_f32_f16_e32 v20, v33
	v_cmp_eq_u32_e32 vcc, 0, v4
	v_mul_lo_u32 v4, s8, v5
	v_add_u32_e32 v4, s3, v4
	v_lshl_add_u32 v12, v4, 7, v19
	v_mov_b32_e32 v13, 0
	s_and_b64 s[4:5], vcc, s[0:1]
	v_lshl_add_u64 v[12:13], v[12:13], 2, s[16:17]
	v_pk_mul_f32 v[34:35], v[6:7], v[16:17] op_sel_hi:[0,1]
	v_pk_mul_f32 v[36:37], v[6:7], v[20:21] op_sel_hi:[0,1]
	global_store_dwordx4 v[12:13], v[34:37], off
	s_and_saveexec_b64 s[0:1], s[4:5]
	s_cbranch_execz .LBB21_22
; %bb.21:
	v_ashrrev_i32_e32 v5, 31, v4
	v_lshl_add_u64 v[12:13], v[4:5], 3, s[18:19]
	v_mov_b32_e32 v16, v0
	v_mov_b32_e32 v17, v10
	global_store_dwordx2 v[12:13], v[16:17], off
.LBB21_22:
	s_or_b64 exec, exec, s[0:1]
	v_cndmask_b32_e64 v0, 0, 1, s[6:7]
	v_cmp_ne_u32_e64 s[0:1], 1, v0
	s_andn2_b64 vcc, exec, s[6:7]
	v_mov_b32_e32 v0, 1.0
	s_cbranch_vccnz .LBB21_24
; %bb.23:
	v_div_scale_f32 v0, s[2:3], v11, v11, 1.0
	v_rcp_f32_e32 v5, v0
	v_div_scale_f32 v6, vcc, 1.0, v11, 1.0
	v_fma_f32 v10, -v0, v5, 1.0
	v_fmac_f32_e32 v5, v10, v5
	v_mul_f32_e32 v10, v6, v5
	v_fma_f32 v12, -v0, v10, v6
	v_fmac_f32_e32 v10, v12, v5
	v_fma_f32 v0, -v0, v10, v6
	v_div_fmas_f32 v0, v0, v5, v10
	v_div_fixup_f32 v0, v0, v11, 1.0
.LBB21_24:
	v_cvt_f32_f16_sdwa v17, v29 dst_sel:DWORD dst_unused:UNUSED_PAD src0_sel:WORD_1
	v_cvt_f32_f16_e32 v16, v29
	v_cvt_f32_f16_sdwa v21, v32 dst_sel:DWORD dst_unused:UNUSED_PAD src0_sel:WORD_1
	v_cvt_f32_f16_e32 v20, v32
	v_add_u32_e32 v4, s8, v4
	v_lshl_add_u32 v12, v4, 7, v19
	v_mov_b32_e32 v13, 0
	v_lshl_add_u64 v[12:13], v[12:13], 2, s[16:17]
	v_pk_mul_f32 v[28:29], v[0:1], v[16:17] op_sel_hi:[0,1]
	v_pk_mul_f32 v[30:31], v[0:1], v[20:21] op_sel_hi:[0,1]
	global_store_dwordx4 v[12:13], v[28:31], off
	s_and_saveexec_b64 s[2:3], s[4:5]
	s_cbranch_execz .LBB21_26
; %bb.25:
	v_ashrrev_i32_e32 v5, 31, v4
	v_lshl_add_u64 v[12:13], v[4:5], 3, s[18:19]
	v_mov_b32_e32 v10, v1
	global_store_dwordx2 v[12:13], v[10:11], off
.LBB21_26:
	s_or_b64 exec, exec, s[2:3]
	s_and_b64 vcc, exec, s[0:1]
	v_mov_b32_e32 v6, 1.0
	s_cbranch_vccnz .LBB21_28
; %bb.27:
	v_div_scale_f32 v0, s[2:3], v8, v8, 1.0
	v_rcp_f32_e32 v1, v0
	v_div_scale_f32 v5, vcc, 1.0, v8, 1.0
	v_fma_f32 v6, -v0, v1, 1.0
	v_fmac_f32_e32 v1, v6, v1
	v_mul_f32_e32 v6, v5, v1
	v_fma_f32 v10, -v0, v6, v5
	v_fmac_f32_e32 v6, v10, v1
	v_fma_f32 v0, -v0, v6, v5
	v_div_fmas_f32 v0, v0, v1, v6
	v_div_fixup_f32 v6, v0, v8, 1.0
.LBB21_28:
	v_cvt_f32_f16_sdwa v11, v22 dst_sel:DWORD dst_unused:UNUSED_PAD src0_sel:WORD_1
	v_cvt_f32_f16_e32 v10, v22
	v_cvt_f32_f16_sdwa v13, v27 dst_sel:DWORD dst_unused:UNUSED_PAD src0_sel:WORD_1
	v_cvt_f32_f16_e32 v12, v27
	v_add_u32_e32 v0, s8, v4
	v_lshl_add_u32 v4, v0, 7, v19
	v_mov_b32_e32 v5, 0
	v_lshl_add_u64 v[4:5], v[4:5], 2, s[16:17]
	v_pk_mul_f32 v[10:11], v[6:7], v[10:11] op_sel_hi:[0,1]
	v_pk_mul_f32 v[12:13], v[6:7], v[12:13] op_sel_hi:[0,1]
	global_store_dwordx4 v[4:5], v[10:13], off
	s_and_saveexec_b64 s[2:3], s[4:5]
	s_cbranch_execz .LBB21_30
; %bb.29:
	v_ashrrev_i32_e32 v1, 31, v0
	v_lshl_add_u64 v[4:5], v[0:1], 3, s[18:19]
	v_mov_b32_e32 v10, v2
	v_mov_b32_e32 v11, v8
	global_store_dwordx2 v[4:5], v[10:11], off
.LBB21_30:
	s_or_b64 exec, exec, s[2:3]
	s_and_b64 vcc, exec, s[0:1]
	v_mov_b32_e32 v2, 1.0
	s_cbranch_vccnz .LBB21_32
; %bb.31:
	v_div_scale_f32 v1, s[0:1], v9, v9, 1.0
	v_rcp_f32_e32 v2, v1
	v_div_scale_f32 v4, vcc, 1.0, v9, 1.0
	v_fma_f32 v5, -v1, v2, 1.0
	v_fmac_f32_e32 v2, v5, v2
	v_mul_f32_e32 v5, v4, v2
	v_fma_f32 v6, -v1, v5, v4
	v_fmac_f32_e32 v5, v6, v2
	v_fma_f32 v1, -v1, v5, v4
	v_div_fmas_f32 v1, v1, v2, v5
	v_div_fixup_f32 v2, v1, v9, 1.0
.LBB21_32:
	v_cvt_f32_f16_sdwa v11, v15 dst_sel:DWORD dst_unused:UNUSED_PAD src0_sel:WORD_1
	v_cvt_f32_f16_e32 v10, v15
	v_cvt_f32_f16_sdwa v13, v7 dst_sel:DWORD dst_unused:UNUSED_PAD src0_sel:WORD_1
	v_cvt_f32_f16_e32 v12, v7
	v_add_u32_e32 v0, s8, v0
	v_lshl_add_u32 v4, v0, 7, v19
	v_mov_b32_e32 v5, 0
	v_lshl_add_u64 v[14:15], v[4:5], 2, s[16:17]
	v_pk_mul_f32 v[4:5], v[2:3], v[10:11] op_sel_hi:[0,1]
	v_pk_mul_f32 v[6:7], v[2:3], v[12:13] op_sel_hi:[0,1]
	global_store_dwordx4 v[14:15], v[4:7], off
	s_and_b64 exec, exec, s[4:5]
	s_cbranch_execz .LBB21_34
; %bb.33:
	v_ashrrev_i32_e32 v1, 31, v0
	v_lshl_add_u64 v[0:1], v[0:1], 3, s[18:19]
	v_mov_b32_e32 v8, v3
	global_store_dwordx2 v[0:1], v[8:9], off
.LBB21_34:
	s_endpgm
.LBB21_35:
                                        ; implicit-def: $vgpr6
                                        ; implicit-def: $vgpr40
                                        ; implicit-def: $vgpr41
                                        ; implicit-def: $vgpr43
                                        ; implicit-def: $vgpr44
                                        ; implicit-def: $vgpr42
                                        ; implicit-def: $vgpr39
	v_lshlrev_b32_e32 v19, 2, v4
.LBB21_36:
	s_sub_i32 s4, 0, s36
	s_mul_i32 s4, s4, s24
	s_mul_hi_u32 s4, s24, s4
	s_abs_i32 s15, s29
	s_add_i32 s24, s24, s4
	s_mul_hi_u32 s34, s15, s24
	s_load_dwordx4 s[24:27], s[0:1], 0x98
	s_load_dword s10, s[0:1], 0x54
	s_load_dwordx2 s[4:5], s[0:1], 0x8c
	s_ashr_i32 s38, s29, 31
	s_ashr_i32 s37, s37, 31
	s_waitcnt lgkmcnt(0)
	s_ashr_i32 s11, s26, 2
	s_ashr_i32 s26, s35, 1
	;; [unrolled: 1-line block ×4, first 2 shown]
	s_mul_hi_u32 s4, s24, s33
	s_mul_i32 s39, s24, s35
	s_add_i32 s4, s4, s39
	s_mul_i32 s25, s25, s33
	s_add_i32 s4, s4, s25
	s_mul_i32 s24, s24, s33
	s_add_u32 s6, s6, s24
	s_mul_i32 s24, s34, s36
	s_addc_u32 s7, s7, s4
	s_sub_i32 s15, s15, s24
	s_xor_b32 s4, s38, s37
	s_add_i32 s24, s34, 1
	s_sub_i32 s25, s15, s36
	s_cmp_ge_u32 s15, s36
	s_cselect_b32 s24, s24, s34
	s_cselect_b32 s15, s25, s15
	s_add_i32 s25, s24, 1
	s_cmp_ge_u32 s15, s36
	s_cselect_b32 s15, s25, s24
	s_load_dwordx2 s[20:21], s[0:1], 0xa8
	s_xor_b32 s15, s15, s4
	s_sub_i32 s15, s15, s4
	s_mul_i32 s4, s15, s5
	s_ashr_i32 s5, s4, 31
	s_add_u32 s4, s6, s4
	s_addc_u32 s5, s7, s5
	s_waitcnt lgkmcnt(0)
	s_mul_hi_u32 s6, s20, s33
	s_mul_i32 s7, s20, s35
	s_add_i32 s6, s6, s7
	s_mul_i32 s7, s21, s33
	s_add_i32 s6, s6, s7
	s_mul_i32 s7, s20, s33
	s_add_u32 s7, s8, s7
	s_mul_i32 s15, s15, s27
	s_addc_u32 s8, s9, s6
	s_ashr_i32 s9, s15, 31
	v_lshrrev_b32_e32 v1, 3, v4
	s_add_u32 s6, s7, s15
	v_add_u32_e32 v1, v1, v7
	v_and_b32_e32 v2, 28, v19
	s_addc_u32 s7, s8, s9
	v_mul_u32_u24_e32 v3, 0x90, v1
	v_lshlrev_b32_e32 v6, 2, v2
	s_movk_i32 s9, 0x3000
	v_mul_lo_u32 v2, s14, v1
	s_movk_i32 s8, 0x90
	v_add3_u32 v23, v3, v6, s9
	v_ashrrev_i32_e32 v3, 31, v2
	v_mov_b32_e32 v1, 0x3000
	v_lshl_add_u64 v[2:3], v[2:3], 2, s[4:5]
	v_mov_b32_e32 v7, 0
	v_mad_u32_u24 v24, v4, s8, v1
	v_mov_b32_e32 v1, 0x4200
	v_lshl_add_u64 v[12:13], v[2:3], 0, v[6:7]
	v_lshl_add_u32 v25, v8, 8, v1
	v_lshrrev_b32_e32 v1, 4, v4
	v_and_b32_e32 v2, 60, v19
	v_lshl_add_u32 v1, v8, 1, v1
	v_lshlrev_b32_e32 v6, 2, v2
	v_lshl_or_b32 v2, v1, 8, v6
	v_add_u32_e32 v26, 0x3000, v2
	v_mul_lo_u32 v2, s11, v1
	v_mad_u64_u32 v[14:15], s[4:5], v9, s26, v[4:5]
	v_ashrrev_i32_e32 v3, 31, v2
	v_lshl_add_u64 v[2:3], v[2:3], 2, s[6:7]
	s_add_u32 s4, s0, 0xd0
	v_lshl_add_u64 v[16:17], v[2:3], 0, v[6:7]
	s_addc_u32 s5, s1, 0
	v_mov_b32_e32 v37, 0xfeffffff
	s_mov_b32 s8, 0x3f200000
	s_mov_b32 s9, 0x3fb8aa3b
	;; [unrolled: 1-line block ×4, first 2 shown]
	v_mov_b32_e32 v28, 0x3ca908c9
	s_brev_b32 s21, -2
	s_mov_b32 s24, 0x10001
	v_mov_b32_e32 v30, 0x7f800000
	v_mbcnt_hi_u32_b32 v6, -1, v0
	v_mov_b32_e32 v15, v7
	v_mov_b32_e32 v27, v7
	;; [unrolled: 1-line block ×14, first 2 shown]
                                        ; implicit-def: $vgpr1
                                        ; implicit-def: $vgpr1
	;; [unrolled: 1-line block ×3, first 2 shown]
.LBB21_37:                              ; =>This Inner Loop Header: Depth=1
	s_mul_hi_i32 s7, s2, s14
	s_mul_i32 s6, s2, s14
	v_lshl_add_u64 v[0:1], s[6:7], 2, v[12:13]
	global_load_dwordx4 v[40:43], v[0:1], off
	v_mov_b32_e32 v39, 0
	v_mov_b32_e32 v38, 0
	v_mov_b32_e32 v3, 0
	v_mov_b32_e32 v2, 0
	s_waitcnt vmcnt(0)
	ds_write_b128 v23, v[40:43]
	s_waitcnt lgkmcnt(0)
	s_barrier
	ds_read_b128 v[40:43], v24
	ds_read_b128 v[44:47], v21
	ds_read_b128 v[48:51], v21 offset:384
	ds_read_b128 v[52:55], v21 offset:768
	;; [unrolled: 1-line block ×3, first 2 shown]
	s_waitcnt lgkmcnt(3)
	;;#ASMSTART
	v_dot2_f32_f16 v39, v40, v44, v39
	;;#ASMEND
	s_nop 0
	;;#ASMSTART
	v_dot2_f32_f16 v39, v41, v45, v39
	;;#ASMEND
	s_nop 0
	;;#ASMSTART
	v_dot2_f32_f16 v39, v42, v46, v39
	;;#ASMEND
	s_nop 0
	;;#ASMSTART
	v_dot2_f32_f16 v39, v43, v47, v39
	;;#ASMEND
	s_waitcnt lgkmcnt(2)
	;;#ASMSTART
	v_dot2_f32_f16 v38, v40, v48, v38
	;;#ASMEND
	s_nop 0
	;;#ASMSTART
	v_dot2_f32_f16 v38, v41, v49, v38
	;;#ASMEND
	s_nop 0
	;;#ASMSTART
	v_dot2_f32_f16 v38, v42, v50, v38
	;;#ASMEND
	s_nop 0
	;;#ASMSTART
	v_dot2_f32_f16 v38, v43, v51, v38
	;;#ASMEND
	;; [unrolled: 16-line block ×4, first 2 shown]
	ds_read_b128 v[40:43], v24 offset:16
	ds_read_b128 v[44:47], v21 offset:16
	;; [unrolled: 1-line block ×5, first 2 shown]
	s_waitcnt lgkmcnt(3)
	;;#ASMSTART
	v_dot2_f32_f16 v39, v40, v44, v39
	;;#ASMEND
	s_nop 0
	;;#ASMSTART
	v_dot2_f32_f16 v39, v41, v45, v39
	;;#ASMEND
	s_nop 0
	;;#ASMSTART
	v_dot2_f32_f16 v39, v42, v46, v39
	;;#ASMEND
	s_nop 0
	;;#ASMSTART
	v_dot2_f32_f16 v39, v43, v47, v39
	;;#ASMEND
	s_waitcnt lgkmcnt(2)
	;;#ASMSTART
	v_dot2_f32_f16 v38, v40, v48, v38
	;;#ASMEND
	s_nop 0
	;;#ASMSTART
	v_dot2_f32_f16 v38, v41, v49, v38
	;;#ASMEND
	s_nop 0
	;;#ASMSTART
	v_dot2_f32_f16 v38, v42, v50, v38
	;;#ASMEND
	s_nop 0
	;;#ASMSTART
	v_dot2_f32_f16 v38, v43, v51, v38
	;;#ASMEND
	;; [unrolled: 16-line block ×4, first 2 shown]
	ds_read_b128 v[40:43], v24 offset:32
	ds_read_b128 v[44:47], v21 offset:32
	;; [unrolled: 1-line block ×5, first 2 shown]
	s_waitcnt lgkmcnt(3)
	;;#ASMSTART
	v_dot2_f32_f16 v39, v40, v44, v39
	;;#ASMEND
	s_nop 0
	;;#ASMSTART
	v_dot2_f32_f16 v39, v41, v45, v39
	;;#ASMEND
	s_nop 0
	;;#ASMSTART
	v_dot2_f32_f16 v39, v42, v46, v39
	;;#ASMEND
	s_nop 0
	;;#ASMSTART
	v_dot2_f32_f16 v39, v43, v47, v39
	;;#ASMEND
	s_waitcnt lgkmcnt(2)
	;;#ASMSTART
	v_dot2_f32_f16 v38, v40, v48, v38
	;;#ASMEND
	s_nop 0
	;;#ASMSTART
	v_dot2_f32_f16 v38, v41, v49, v38
	;;#ASMEND
	s_nop 0
	;;#ASMSTART
	v_dot2_f32_f16 v38, v42, v50, v38
	;;#ASMEND
	s_nop 0
	;;#ASMSTART
	v_dot2_f32_f16 v38, v43, v51, v38
	;;#ASMEND
	;; [unrolled: 16-line block ×4, first 2 shown]
	ds_read_b128 v[40:43], v24 offset:48
	ds_read_b128 v[44:47], v21 offset:48
	;; [unrolled: 1-line block ×5, first 2 shown]
	s_waitcnt lgkmcnt(3)
	;;#ASMSTART
	v_dot2_f32_f16 v39, v40, v44, v39
	;;#ASMEND
	s_nop 0
	;;#ASMSTART
	v_dot2_f32_f16 v39, v41, v45, v39
	;;#ASMEND
	s_nop 0
	;;#ASMSTART
	v_dot2_f32_f16 v39, v42, v46, v39
	;;#ASMEND
	s_nop 0
	;;#ASMSTART
	v_dot2_f32_f16 v39, v43, v47, v39
	;;#ASMEND
	s_waitcnt lgkmcnt(2)
	;;#ASMSTART
	v_dot2_f32_f16 v38, v40, v48, v38
	;;#ASMEND
	s_nop 0
	;;#ASMSTART
	v_dot2_f32_f16 v38, v41, v49, v38
	;;#ASMEND
	s_nop 0
	;;#ASMSTART
	v_dot2_f32_f16 v38, v42, v50, v38
	;;#ASMEND
	s_nop 0
	;;#ASMSTART
	v_dot2_f32_f16 v38, v43, v51, v38
	;;#ASMEND
	;; [unrolled: 16-line block ×4, first 2 shown]
	ds_read_b128 v[40:43], v24 offset:64
	ds_read_b128 v[44:47], v21 offset:64
	;; [unrolled: 1-line block ×5, first 2 shown]
	s_waitcnt lgkmcnt(3)
	;;#ASMSTART
	v_dot2_f32_f16 v39, v40, v44, v39
	;;#ASMEND
	s_nop 0
	;;#ASMSTART
	v_dot2_f32_f16 v39, v41, v45, v39
	;;#ASMEND
	s_nop 0
	;;#ASMSTART
	v_dot2_f32_f16 v39, v42, v46, v39
	;;#ASMEND
	s_nop 0
	;;#ASMSTART
	v_dot2_f32_f16 v39, v43, v47, v39
	;;#ASMEND
	s_waitcnt lgkmcnt(2)
	;;#ASMSTART
	v_dot2_f32_f16 v38, v40, v48, v38
	;;#ASMEND
	s_nop 0
	;;#ASMSTART
	v_dot2_f32_f16 v38, v41, v49, v38
	;;#ASMEND
	s_nop 0
	;;#ASMSTART
	v_dot2_f32_f16 v38, v42, v50, v38
	;;#ASMEND
	s_nop 0
	;;#ASMSTART
	v_dot2_f32_f16 v38, v43, v51, v38
	;;#ASMEND
	;; [unrolled: 16-line block ×4, first 2 shown]
	ds_read_b128 v[40:43], v24 offset:80
	ds_read_b128 v[44:47], v21 offset:80
	ds_read_b128 v[48:51], v21 offset:464
	ds_read_b128 v[52:55], v21 offset:848
	ds_read_b128 v[56:59], v21 offset:1232
	s_waitcnt lgkmcnt(3)
	;;#ASMSTART
	v_dot2_f32_f16 v39, v40, v44, v39
	;;#ASMEND
	s_nop 0
	;;#ASMSTART
	v_dot2_f32_f16 v39, v41, v45, v39
	;;#ASMEND
	s_nop 0
	;;#ASMSTART
	v_dot2_f32_f16 v39, v42, v46, v39
	;;#ASMEND
	s_nop 0
	;;#ASMSTART
	v_dot2_f32_f16 v39, v43, v47, v39
	;;#ASMEND
	s_waitcnt lgkmcnt(2)
	;;#ASMSTART
	v_dot2_f32_f16 v38, v40, v48, v38
	;;#ASMEND
	s_nop 0
	;;#ASMSTART
	v_dot2_f32_f16 v38, v41, v49, v38
	;;#ASMEND
	s_nop 0
	;;#ASMSTART
	v_dot2_f32_f16 v38, v42, v50, v38
	;;#ASMEND
	s_nop 0
	;;#ASMSTART
	v_dot2_f32_f16 v38, v43, v51, v38
	;;#ASMEND
	;; [unrolled: 16-line block ×4, first 2 shown]
	ds_read_b128 v[40:43], v24 offset:96
	ds_read_b128 v[44:47], v21 offset:96
	;; [unrolled: 1-line block ×5, first 2 shown]
	s_waitcnt lgkmcnt(3)
	;;#ASMSTART
	v_dot2_f32_f16 v39, v40, v44, v39
	;;#ASMEND
	s_nop 0
	;;#ASMSTART
	v_dot2_f32_f16 v39, v41, v45, v39
	;;#ASMEND
	s_nop 0
	;;#ASMSTART
	v_dot2_f32_f16 v39, v42, v46, v39
	;;#ASMEND
	s_nop 0
	;;#ASMSTART
	v_dot2_f32_f16 v39, v43, v47, v39
	;;#ASMEND
	s_waitcnt lgkmcnt(2)
	;;#ASMSTART
	v_dot2_f32_f16 v38, v40, v48, v38
	;;#ASMEND
	s_nop 0
	;;#ASMSTART
	v_dot2_f32_f16 v38, v41, v49, v38
	;;#ASMEND
	s_nop 0
	;;#ASMSTART
	v_dot2_f32_f16 v38, v42, v50, v38
	;;#ASMEND
	s_nop 0
	;;#ASMSTART
	v_dot2_f32_f16 v38, v43, v51, v38
	;;#ASMEND
	;; [unrolled: 16-line block ×4, first 2 shown]
	ds_read_b128 v[40:43], v24 offset:112
	ds_read_b128 v[44:47], v21 offset:112
	;; [unrolled: 1-line block ×5, first 2 shown]
	s_waitcnt lgkmcnt(3)
	;;#ASMSTART
	v_dot2_f32_f16 v39, v40, v44, v39
	;;#ASMEND
	s_nop 0
	;;#ASMSTART
	v_dot2_f32_f16 v39, v41, v45, v39
	;;#ASMEND
	s_nop 0
	;;#ASMSTART
	v_dot2_f32_f16 v39, v42, v46, v39
	;;#ASMEND
	s_nop 0
	;;#ASMSTART
	v_dot2_f32_f16 v39, v43, v47, v39
	;;#ASMEND
	s_waitcnt lgkmcnt(2)
	;;#ASMSTART
	v_dot2_f32_f16 v38, v40, v48, v38
	;;#ASMEND
	s_nop 0
	;;#ASMSTART
	v_dot2_f32_f16 v38, v41, v49, v38
	;;#ASMEND
	s_nop 0
	;;#ASMSTART
	v_dot2_f32_f16 v38, v42, v50, v38
	;;#ASMEND
	s_nop 0
	;;#ASMSTART
	v_dot2_f32_f16 v38, v43, v51, v38
	;;#ASMEND
	;; [unrolled: 16-line block ×4, first 2 shown]
	s_barrier
	global_load_dwordx4 v[40:43], v[0:1], off offset:128
	s_waitcnt vmcnt(0)
	ds_write_b128 v23, v[40:43]
	s_waitcnt lgkmcnt(0)
	s_barrier
	ds_read_b128 v[40:43], v24
	ds_read_b128 v[44:47], v21 offset:128
	ds_read_b128 v[48:51], v21 offset:512
	;; [unrolled: 1-line block ×4, first 2 shown]
	s_waitcnt lgkmcnt(3)
	;;#ASMSTART
	v_dot2_f32_f16 v39, v40, v44, v39
	;;#ASMEND
	s_nop 0
	;;#ASMSTART
	v_dot2_f32_f16 v39, v41, v45, v39
	;;#ASMEND
	s_nop 0
	;;#ASMSTART
	v_dot2_f32_f16 v39, v42, v46, v39
	;;#ASMEND
	s_nop 0
	;;#ASMSTART
	v_dot2_f32_f16 v39, v43, v47, v39
	;;#ASMEND
	s_waitcnt lgkmcnt(2)
	;;#ASMSTART
	v_dot2_f32_f16 v38, v40, v48, v38
	;;#ASMEND
	s_nop 0
	;;#ASMSTART
	v_dot2_f32_f16 v38, v41, v49, v38
	;;#ASMEND
	s_nop 0
	;;#ASMSTART
	v_dot2_f32_f16 v38, v42, v50, v38
	;;#ASMEND
	s_nop 0
	;;#ASMSTART
	v_dot2_f32_f16 v38, v43, v51, v38
	;;#ASMEND
	s_waitcnt lgkmcnt(1)
	;;#ASMSTART
	v_dot2_f32_f16 v3, v40, v52, v3
	;;#ASMEND
	s_nop 0
	;;#ASMSTART
	v_dot2_f32_f16 v3, v41, v53, v3
	;;#ASMEND
	s_nop 0
	;;#ASMSTART
	v_dot2_f32_f16 v3, v42, v54, v3
	;;#ASMEND
	s_nop 0
	;;#ASMSTART
	v_dot2_f32_f16 v3, v43, v55, v3
	;;#ASMEND
	s_waitcnt lgkmcnt(0)
	;;#ASMSTART
	v_dot2_f32_f16 v2, v40, v56, v2
	;;#ASMEND
	s_nop 0
	;;#ASMSTART
	v_dot2_f32_f16 v2, v41, v57, v2
	;;#ASMEND
	s_nop 0
	;;#ASMSTART
	v_dot2_f32_f16 v2, v42, v58, v2
	;;#ASMEND
	s_nop 0
	;;#ASMSTART
	v_dot2_f32_f16 v2, v43, v59, v2
	;;#ASMEND
	ds_read_b128 v[40:43], v24 offset:16
	ds_read_b128 v[44:47], v21 offset:144
	;; [unrolled: 1-line block ×5, first 2 shown]
	s_waitcnt lgkmcnt(3)
	;;#ASMSTART
	v_dot2_f32_f16 v39, v40, v44, v39
	;;#ASMEND
	s_nop 0
	;;#ASMSTART
	v_dot2_f32_f16 v39, v41, v45, v39
	;;#ASMEND
	s_nop 0
	;;#ASMSTART
	v_dot2_f32_f16 v39, v42, v46, v39
	;;#ASMEND
	s_nop 0
	;;#ASMSTART
	v_dot2_f32_f16 v39, v43, v47, v39
	;;#ASMEND
	s_waitcnt lgkmcnt(2)
	;;#ASMSTART
	v_dot2_f32_f16 v38, v40, v48, v38
	;;#ASMEND
	s_nop 0
	;;#ASMSTART
	v_dot2_f32_f16 v38, v41, v49, v38
	;;#ASMEND
	s_nop 0
	;;#ASMSTART
	v_dot2_f32_f16 v38, v42, v50, v38
	;;#ASMEND
	s_nop 0
	;;#ASMSTART
	v_dot2_f32_f16 v38, v43, v51, v38
	;;#ASMEND
	;; [unrolled: 16-line block ×4, first 2 shown]
	ds_read_b128 v[40:43], v24 offset:32
	ds_read_b128 v[44:47], v21 offset:160
	;; [unrolled: 1-line block ×5, first 2 shown]
	s_waitcnt lgkmcnt(3)
	;;#ASMSTART
	v_dot2_f32_f16 v39, v40, v44, v39
	;;#ASMEND
	s_nop 0
	;;#ASMSTART
	v_dot2_f32_f16 v39, v41, v45, v39
	;;#ASMEND
	s_nop 0
	;;#ASMSTART
	v_dot2_f32_f16 v39, v42, v46, v39
	;;#ASMEND
	s_nop 0
	;;#ASMSTART
	v_dot2_f32_f16 v39, v43, v47, v39
	;;#ASMEND
	s_waitcnt lgkmcnt(2)
	;;#ASMSTART
	v_dot2_f32_f16 v38, v40, v48, v38
	;;#ASMEND
	s_nop 0
	;;#ASMSTART
	v_dot2_f32_f16 v38, v41, v49, v38
	;;#ASMEND
	s_nop 0
	;;#ASMSTART
	v_dot2_f32_f16 v38, v42, v50, v38
	;;#ASMEND
	s_nop 0
	;;#ASMSTART
	v_dot2_f32_f16 v38, v43, v51, v38
	;;#ASMEND
	;; [unrolled: 16-line block ×4, first 2 shown]
	ds_read_b128 v[40:43], v24 offset:48
	ds_read_b128 v[44:47], v21 offset:176
	;; [unrolled: 1-line block ×5, first 2 shown]
	s_waitcnt lgkmcnt(3)
	;;#ASMSTART
	v_dot2_f32_f16 v39, v40, v44, v39
	;;#ASMEND
	s_nop 0
	;;#ASMSTART
	v_dot2_f32_f16 v39, v41, v45, v39
	;;#ASMEND
	s_nop 0
	;;#ASMSTART
	v_dot2_f32_f16 v39, v42, v46, v39
	;;#ASMEND
	s_nop 0
	;;#ASMSTART
	v_dot2_f32_f16 v39, v43, v47, v39
	;;#ASMEND
	s_waitcnt lgkmcnt(2)
	;;#ASMSTART
	v_dot2_f32_f16 v38, v40, v48, v38
	;;#ASMEND
	s_nop 0
	;;#ASMSTART
	v_dot2_f32_f16 v38, v41, v49, v38
	;;#ASMEND
	s_nop 0
	;;#ASMSTART
	v_dot2_f32_f16 v38, v42, v50, v38
	;;#ASMEND
	s_nop 0
	;;#ASMSTART
	v_dot2_f32_f16 v38, v43, v51, v38
	;;#ASMEND
	;; [unrolled: 16-line block ×4, first 2 shown]
	ds_read_b128 v[40:43], v24 offset:64
	ds_read_b128 v[44:47], v21 offset:192
	;; [unrolled: 1-line block ×5, first 2 shown]
	s_waitcnt lgkmcnt(3)
	;;#ASMSTART
	v_dot2_f32_f16 v39, v40, v44, v39
	;;#ASMEND
	s_nop 0
	;;#ASMSTART
	v_dot2_f32_f16 v39, v41, v45, v39
	;;#ASMEND
	s_nop 0
	;;#ASMSTART
	v_dot2_f32_f16 v39, v42, v46, v39
	;;#ASMEND
	s_nop 0
	;;#ASMSTART
	v_dot2_f32_f16 v39, v43, v47, v39
	;;#ASMEND
	s_waitcnt lgkmcnt(2)
	;;#ASMSTART
	v_dot2_f32_f16 v38, v40, v48, v38
	;;#ASMEND
	s_nop 0
	;;#ASMSTART
	v_dot2_f32_f16 v38, v41, v49, v38
	;;#ASMEND
	s_nop 0
	;;#ASMSTART
	v_dot2_f32_f16 v38, v42, v50, v38
	;;#ASMEND
	s_nop 0
	;;#ASMSTART
	v_dot2_f32_f16 v38, v43, v51, v38
	;;#ASMEND
	;; [unrolled: 16-line block ×4, first 2 shown]
	ds_read_b128 v[40:43], v24 offset:80
	ds_read_b128 v[44:47], v21 offset:208
	;; [unrolled: 1-line block ×5, first 2 shown]
	s_waitcnt lgkmcnt(3)
	;;#ASMSTART
	v_dot2_f32_f16 v39, v40, v44, v39
	;;#ASMEND
	s_nop 0
	;;#ASMSTART
	v_dot2_f32_f16 v39, v41, v45, v39
	;;#ASMEND
	s_nop 0
	;;#ASMSTART
	v_dot2_f32_f16 v39, v42, v46, v39
	;;#ASMEND
	s_nop 0
	;;#ASMSTART
	v_dot2_f32_f16 v39, v43, v47, v39
	;;#ASMEND
	s_waitcnt lgkmcnt(2)
	;;#ASMSTART
	v_dot2_f32_f16 v38, v40, v48, v38
	;;#ASMEND
	s_nop 0
	;;#ASMSTART
	v_dot2_f32_f16 v38, v41, v49, v38
	;;#ASMEND
	s_nop 0
	;;#ASMSTART
	v_dot2_f32_f16 v38, v42, v50, v38
	;;#ASMEND
	s_nop 0
	;;#ASMSTART
	v_dot2_f32_f16 v38, v43, v51, v38
	;;#ASMEND
	;; [unrolled: 16-line block ×4, first 2 shown]
	ds_read_b128 v[40:43], v24 offset:96
	ds_read_b128 v[44:47], v21 offset:224
	;; [unrolled: 1-line block ×5, first 2 shown]
	s_waitcnt lgkmcnt(3)
	;;#ASMSTART
	v_dot2_f32_f16 v39, v40, v44, v39
	;;#ASMEND
	s_nop 0
	;;#ASMSTART
	v_dot2_f32_f16 v39, v41, v45, v39
	;;#ASMEND
	s_nop 0
	;;#ASMSTART
	v_dot2_f32_f16 v39, v42, v46, v39
	;;#ASMEND
	s_nop 0
	;;#ASMSTART
	v_dot2_f32_f16 v39, v43, v47, v39
	;;#ASMEND
	s_waitcnt lgkmcnt(2)
	;;#ASMSTART
	v_dot2_f32_f16 v38, v40, v48, v38
	;;#ASMEND
	s_nop 0
	;;#ASMSTART
	v_dot2_f32_f16 v38, v41, v49, v38
	;;#ASMEND
	s_nop 0
	;;#ASMSTART
	v_dot2_f32_f16 v38, v42, v50, v38
	;;#ASMEND
	s_nop 0
	;;#ASMSTART
	v_dot2_f32_f16 v38, v43, v51, v38
	;;#ASMEND
	;; [unrolled: 16-line block ×4, first 2 shown]
	ds_read_b128 v[40:43], v24 offset:112
	ds_read_b128 v[44:47], v21 offset:240
	;; [unrolled: 1-line block ×5, first 2 shown]
	s_waitcnt lgkmcnt(3)
	;;#ASMSTART
	v_dot2_f32_f16 v39, v40, v44, v39
	;;#ASMEND
	s_nop 0
	;;#ASMSTART
	v_dot2_f32_f16 v39, v41, v45, v39
	;;#ASMEND
	s_nop 0
	;;#ASMSTART
	v_dot2_f32_f16 v39, v42, v46, v39
	;;#ASMEND
	s_nop 0
	;;#ASMSTART
	v_dot2_f32_f16 v39, v43, v47, v39
	;;#ASMEND
	s_waitcnt lgkmcnt(2)
	;;#ASMSTART
	v_dot2_f32_f16 v38, v40, v48, v38
	;;#ASMEND
	s_nop 0
	;;#ASMSTART
	v_dot2_f32_f16 v38, v41, v49, v38
	;;#ASMEND
	s_nop 0
	;;#ASMSTART
	v_dot2_f32_f16 v38, v42, v50, v38
	;;#ASMEND
	s_nop 0
	;;#ASMSTART
	v_dot2_f32_f16 v38, v43, v51, v38
	;;#ASMEND
	;; [unrolled: 16-line block ×4, first 2 shown]
	s_barrier
	global_load_dwordx4 v[40:43], v[0:1], off offset:256
	v_add_u32_e32 v0, s2, v14
	v_ashrrev_i32_e32 v1, 31, v0
	v_lshl_add_u64 v[0:1], v[0:1], 1, s[30:31]
	s_waitcnt vmcnt(0)
	ds_write_b128 v23, v[40:43]
	s_waitcnt lgkmcnt(0)
	s_barrier
	ds_read_b128 v[40:43], v24
	ds_read_b128 v[44:47], v21 offset:256
	ds_read_b128 v[48:51], v21 offset:640
	;; [unrolled: 1-line block ×4, first 2 shown]
	s_waitcnt lgkmcnt(3)
	;;#ASMSTART
	v_dot2_f32_f16 v39, v40, v44, v39
	;;#ASMEND
	s_nop 0
	;;#ASMSTART
	v_dot2_f32_f16 v39, v41, v45, v39
	;;#ASMEND
	s_nop 0
	;;#ASMSTART
	v_dot2_f32_f16 v39, v42, v46, v39
	;;#ASMEND
	s_nop 0
	;;#ASMSTART
	v_dot2_f32_f16 v39, v43, v47, v39
	;;#ASMEND
	s_waitcnt lgkmcnt(2)
	;;#ASMSTART
	v_dot2_f32_f16 v38, v40, v48, v38
	;;#ASMEND
	s_nop 0
	;;#ASMSTART
	v_dot2_f32_f16 v38, v41, v49, v38
	;;#ASMEND
	s_nop 0
	;;#ASMSTART
	v_dot2_f32_f16 v38, v42, v50, v38
	;;#ASMEND
	s_nop 0
	;;#ASMSTART
	v_dot2_f32_f16 v38, v43, v51, v38
	;;#ASMEND
	;; [unrolled: 16-line block ×4, first 2 shown]
	ds_read_b128 v[40:43], v24 offset:16
	ds_read_b128 v[44:47], v21 offset:272
	;; [unrolled: 1-line block ×5, first 2 shown]
	s_waitcnt lgkmcnt(3)
	;;#ASMSTART
	v_dot2_f32_f16 v39, v40, v44, v39
	;;#ASMEND
	s_nop 0
	;;#ASMSTART
	v_dot2_f32_f16 v39, v41, v45, v39
	;;#ASMEND
	s_nop 0
	;;#ASMSTART
	v_dot2_f32_f16 v39, v42, v46, v39
	;;#ASMEND
	s_nop 0
	;;#ASMSTART
	v_dot2_f32_f16 v39, v43, v47, v39
	;;#ASMEND
	s_waitcnt lgkmcnt(2)
	;;#ASMSTART
	v_dot2_f32_f16 v38, v40, v48, v38
	;;#ASMEND
	s_nop 0
	;;#ASMSTART
	v_dot2_f32_f16 v38, v41, v49, v38
	;;#ASMEND
	s_nop 0
	;;#ASMSTART
	v_dot2_f32_f16 v38, v42, v50, v38
	;;#ASMEND
	s_nop 0
	;;#ASMSTART
	v_dot2_f32_f16 v38, v43, v51, v38
	;;#ASMEND
	s_waitcnt lgkmcnt(1)
	;;#ASMSTART
	v_dot2_f32_f16 v3, v40, v52, v3
	;;#ASMEND
	s_nop 0
	;;#ASMSTART
	v_dot2_f32_f16 v3, v41, v53, v3
	;;#ASMEND
	s_nop 0
	;;#ASMSTART
	v_dot2_f32_f16 v3, v42, v54, v3
	;;#ASMEND
	s_nop 0
	;;#ASMSTART
	v_dot2_f32_f16 v3, v43, v55, v3
	;;#ASMEND
	s_waitcnt lgkmcnt(0)
	;;#ASMSTART
	v_dot2_f32_f16 v2, v40, v56, v2
	;;#ASMEND
	s_nop 0
	;;#ASMSTART
	v_dot2_f32_f16 v2, v41, v57, v2
	;;#ASMEND
	s_nop 0
	;;#ASMSTART
	v_dot2_f32_f16 v2, v42, v58, v2
	;;#ASMEND
	s_nop 0
	;;#ASMSTART
	v_dot2_f32_f16 v2, v43, v59, v2
	;;#ASMEND
	ds_read_b128 v[40:43], v24 offset:32
	ds_read_b128 v[44:47], v21 offset:288
	;; [unrolled: 1-line block ×5, first 2 shown]
	s_waitcnt lgkmcnt(3)
	;;#ASMSTART
	v_dot2_f32_f16 v39, v40, v44, v39
	;;#ASMEND
	s_nop 0
	;;#ASMSTART
	v_dot2_f32_f16 v39, v41, v45, v39
	;;#ASMEND
	s_nop 0
	;;#ASMSTART
	v_dot2_f32_f16 v39, v42, v46, v39
	;;#ASMEND
	s_nop 0
	;;#ASMSTART
	v_dot2_f32_f16 v39, v43, v47, v39
	;;#ASMEND
	s_waitcnt lgkmcnt(2)
	;;#ASMSTART
	v_dot2_f32_f16 v38, v40, v48, v38
	;;#ASMEND
	s_nop 0
	;;#ASMSTART
	v_dot2_f32_f16 v38, v41, v49, v38
	;;#ASMEND
	s_nop 0
	;;#ASMSTART
	v_dot2_f32_f16 v38, v42, v50, v38
	;;#ASMEND
	s_nop 0
	;;#ASMSTART
	v_dot2_f32_f16 v38, v43, v51, v38
	;;#ASMEND
	;; [unrolled: 16-line block ×4, first 2 shown]
	ds_read_b128 v[40:43], v24 offset:48
	ds_read_b128 v[44:47], v21 offset:304
	;; [unrolled: 1-line block ×5, first 2 shown]
	s_waitcnt lgkmcnt(3)
	;;#ASMSTART
	v_dot2_f32_f16 v39, v40, v44, v39
	;;#ASMEND
	s_nop 0
	;;#ASMSTART
	v_dot2_f32_f16 v39, v41, v45, v39
	;;#ASMEND
	s_nop 0
	;;#ASMSTART
	v_dot2_f32_f16 v39, v42, v46, v39
	;;#ASMEND
	s_nop 0
	;;#ASMSTART
	v_dot2_f32_f16 v39, v43, v47, v39
	;;#ASMEND
	s_waitcnt lgkmcnt(2)
	;;#ASMSTART
	v_dot2_f32_f16 v38, v40, v48, v38
	;;#ASMEND
	s_nop 0
	;;#ASMSTART
	v_dot2_f32_f16 v38, v41, v49, v38
	;;#ASMEND
	s_nop 0
	;;#ASMSTART
	v_dot2_f32_f16 v38, v42, v50, v38
	;;#ASMEND
	s_nop 0
	;;#ASMSTART
	v_dot2_f32_f16 v38, v43, v51, v38
	;;#ASMEND
	;; [unrolled: 16-line block ×4, first 2 shown]
	ds_read_b128 v[40:43], v24 offset:64
	ds_read_b128 v[44:47], v21 offset:320
	;; [unrolled: 1-line block ×5, first 2 shown]
	s_waitcnt lgkmcnt(3)
	;;#ASMSTART
	v_dot2_f32_f16 v39, v40, v44, v39
	;;#ASMEND
	s_nop 0
	;;#ASMSTART
	v_dot2_f32_f16 v39, v41, v45, v39
	;;#ASMEND
	s_nop 0
	;;#ASMSTART
	v_dot2_f32_f16 v39, v42, v46, v39
	;;#ASMEND
	s_nop 0
	;;#ASMSTART
	v_dot2_f32_f16 v39, v43, v47, v39
	;;#ASMEND
	s_waitcnt lgkmcnt(2)
	;;#ASMSTART
	v_dot2_f32_f16 v38, v40, v48, v38
	;;#ASMEND
	s_nop 0
	;;#ASMSTART
	v_dot2_f32_f16 v38, v41, v49, v38
	;;#ASMEND
	s_nop 0
	;;#ASMSTART
	v_dot2_f32_f16 v38, v42, v50, v38
	;;#ASMEND
	s_nop 0
	;;#ASMSTART
	v_dot2_f32_f16 v38, v43, v51, v38
	;;#ASMEND
	s_waitcnt lgkmcnt(1)
	;;#ASMSTART
	v_dot2_f32_f16 v3, v40, v52, v3
	;;#ASMEND
	s_nop 0
	;;#ASMSTART
	v_dot2_f32_f16 v3, v41, v53, v3
	;;#ASMEND
	s_nop 0
	;;#ASMSTART
	v_dot2_f32_f16 v3, v42, v54, v3
	;;#ASMEND
	s_nop 0
	;;#ASMSTART
	v_dot2_f32_f16 v3, v43, v55, v3
	;;#ASMEND
	s_waitcnt lgkmcnt(0)
	;;#ASMSTART
	v_dot2_f32_f16 v2, v40, v56, v2
	;;#ASMEND
	s_nop 0
	;;#ASMSTART
	v_dot2_f32_f16 v2, v41, v57, v2
	;;#ASMEND
	s_nop 0
	;;#ASMSTART
	v_dot2_f32_f16 v2, v42, v58, v2
	;;#ASMEND
	s_nop 0
	;;#ASMSTART
	v_dot2_f32_f16 v2, v43, v59, v2
	;;#ASMEND
	ds_read_b128 v[40:43], v24 offset:80
	ds_read_b128 v[44:47], v21 offset:336
	ds_read_b128 v[48:51], v21 offset:720
	ds_read_b128 v[52:55], v21 offset:1104
	ds_read_b128 v[56:59], v21 offset:1488
	s_waitcnt lgkmcnt(3)
	;;#ASMSTART
	v_dot2_f32_f16 v39, v40, v44, v39
	;;#ASMEND
	s_nop 0
	;;#ASMSTART
	v_dot2_f32_f16 v39, v41, v45, v39
	;;#ASMEND
	s_nop 0
	;;#ASMSTART
	v_dot2_f32_f16 v39, v42, v46, v39
	;;#ASMEND
	s_nop 0
	;;#ASMSTART
	v_dot2_f32_f16 v39, v43, v47, v39
	;;#ASMEND
	s_waitcnt lgkmcnt(2)
	;;#ASMSTART
	v_dot2_f32_f16 v38, v40, v48, v38
	;;#ASMEND
	s_nop 0
	;;#ASMSTART
	v_dot2_f32_f16 v38, v41, v49, v38
	;;#ASMEND
	s_nop 0
	;;#ASMSTART
	v_dot2_f32_f16 v38, v42, v50, v38
	;;#ASMEND
	s_nop 0
	;;#ASMSTART
	v_dot2_f32_f16 v38, v43, v51, v38
	;;#ASMEND
	;; [unrolled: 16-line block ×4, first 2 shown]
	ds_read_b128 v[40:43], v24 offset:96
	ds_read_b128 v[44:47], v21 offset:352
	;; [unrolled: 1-line block ×5, first 2 shown]
	s_waitcnt lgkmcnt(3)
	;;#ASMSTART
	v_dot2_f32_f16 v39, v40, v44, v39
	;;#ASMEND
	s_nop 0
	;;#ASMSTART
	v_dot2_f32_f16 v39, v41, v45, v39
	;;#ASMEND
	s_nop 0
	;;#ASMSTART
	v_dot2_f32_f16 v39, v42, v46, v39
	;;#ASMEND
	s_nop 0
	;;#ASMSTART
	v_dot2_f32_f16 v39, v43, v47, v39
	;;#ASMEND
	s_waitcnt lgkmcnt(2)
	;;#ASMSTART
	v_dot2_f32_f16 v38, v40, v48, v38
	;;#ASMEND
	s_nop 0
	;;#ASMSTART
	v_dot2_f32_f16 v38, v41, v49, v38
	;;#ASMEND
	s_nop 0
	;;#ASMSTART
	v_dot2_f32_f16 v38, v42, v50, v38
	;;#ASMEND
	s_nop 0
	;;#ASMSTART
	v_dot2_f32_f16 v38, v43, v51, v38
	;;#ASMEND
	;; [unrolled: 16-line block ×4, first 2 shown]
	ds_read_b128 v[40:43], v24 offset:112
	ds_read_b128 v[44:47], v21 offset:368
	;; [unrolled: 1-line block ×5, first 2 shown]
	s_waitcnt lgkmcnt(3)
	;;#ASMSTART
	v_dot2_f32_f16 v39, v40, v44, v39
	;;#ASMEND
	s_nop 0
	;;#ASMSTART
	v_dot2_f32_f16 v39, v41, v45, v39
	;;#ASMEND
	s_nop 0
	;; [unrolled: 4-line block ×3, first 2 shown]
	;;#ASMSTART
	v_dot2_f32_f16 v39, v43, v47, v39
	;;#ASMEND
	s_waitcnt lgkmcnt(2)
	;;#ASMSTART
	v_dot2_f32_f16 v38, v40, v48, v38
	;;#ASMEND
	s_nop 0
	;;#ASMSTART
	v_dot2_f32_f16 v38, v41, v49, v38
	;;#ASMEND
	v_cmp_nlt_f32_e64 s[6:7], |v39|, s8
	;;#ASMSTART
	v_dot2_f32_f16 v38, v42, v50, v38
	;;#ASMEND
	s_nop 0
	;;#ASMSTART
	v_dot2_f32_f16 v38, v43, v51, v38
	;;#ASMEND
	s_waitcnt lgkmcnt(1)
	;;#ASMSTART
	v_dot2_f32_f16 v3, v40, v52, v3
	;;#ASMEND
	s_nop 0
	;;#ASMSTART
	v_dot2_f32_f16 v3, v41, v53, v3
	;;#ASMEND
	s_nop 0
	;; [unrolled: 4-line block ×3, first 2 shown]
	;;#ASMSTART
	v_dot2_f32_f16 v3, v43, v55, v3
	;;#ASMEND
	s_waitcnt lgkmcnt(0)
	;;#ASMSTART
	v_dot2_f32_f16 v2, v40, v56, v2
	;;#ASMEND
	s_nop 0
	;;#ASMSTART
	v_dot2_f32_f16 v2, v41, v57, v2
	;;#ASMEND
	s_nop 0
	;; [unrolled: 4-line block ×3, first 2 shown]
	;;#ASMSTART
	v_dot2_f32_f16 v2, v43, v59, v2
	;;#ASMEND
	global_load_ushort v45, v[0:1], off
                                        ; implicit-def: $vgpr1
	s_and_saveexec_b64 s[26:27], s[6:7]
	s_xor_b64 s[6:7], exec, s[26:27]
	s_cbranch_execz .LBB21_39
; %bb.38:                               ;   in Loop: Header=BB21_37 Depth=1
	v_add_f32_e64 v0, |v39|, |v39|
	v_mul_f32_e32 v1, 0x3fb8aa3b, v0
	v_rndne_f32_e32 v40, v1
	v_sub_f32_e32 v41, v1, v40
	v_fma_f32 v1, v0, s9, -v1
	v_fmac_f32_e32 v1, 0x32a5705f, v0
	v_add_f32_e32 v1, v41, v1
	v_cvt_i32_f32_e32 v40, v40
	v_exp_f32_e32 v1, v1
	v_cmp_ngt_f32_e32 vcc, s15, v0
	v_ldexp_f32 v1, v1, v40
	s_nop 0
	v_cndmask_b32_e32 v1, 0, v1, vcc
	v_cmp_nlt_f32_e32 vcc, s20, v0
	s_nop 1
	v_cndmask_b32_e32 v0, v30, v1, vcc
	v_add_f32_e32 v0, 1.0, v0
	v_rcp_f32_e32 v0, v0
	s_nop 0
	v_fma_f32 v1, v0, -2.0, 1.0
.LBB21_39:                              ;   in Loop: Header=BB21_37 Depth=1
	s_andn2_saveexec_b64 s[6:7], s[6:7]
; %bb.40:                               ;   in Loop: Header=BB21_37 Depth=1
	v_mul_f32_e32 v0, v39, v39
	v_fmamk_f32 v1, v0, 0xbbbac73d, v28
	v_fmaak_f32 v1, v0, v1, 0xbd5c1c4e
	v_fmaak_f32 v1, v0, v1, 0x3e088382
	;; [unrolled: 1-line block ×3, first 2 shown]
	v_mul_f32_e64 v1, |v39|, v1
	v_fma_f32 v1, v0, v1, |v39|
; %bb.41:                               ;   in Loop: Header=BB21_37 Depth=1
	s_or_b64 exec, exec, s[6:7]
	v_and_b32_e32 v0, 0x60, v6
	v_add_u32_e32 v40, 32, v0
	v_xor_b32_e32 v41, 16, v6
	v_bfi_b32 v1, s21, v1, v39
	v_cmp_lt_i32_e32 vcc, v41, v40
	s_waitcnt vmcnt(0)
	v_fma_mix_f32 v46, s10, v1, v45 op_sel_hi:[0,0,1]
	v_add_f32_e32 v1, 0x40051340, v46
	v_cndmask_b32_e32 v0, v6, v41, vcc
	v_max_f32_e32 v39, v37, v37
	v_lshlrev_b32_e32 v0, 2, v0
	v_max_f32_e32 v1, v39, v1
	ds_bpermute_b32 v39, v0, v1
	v_xor_b32_e32 v43, 8, v6
	v_cmp_lt_i32_e32 vcc, v43, v40
	v_xor_b32_e32 v44, 4, v6
	v_cmp_nlt_f32_e64 s[6:7], |v38|, s8
	v_cndmask_b32_e32 v42, v6, v43, vcc
	s_waitcnt lgkmcnt(0)
	v_max_f32_e32 v39, v39, v39
	v_lshlrev_b32_e32 v50, 2, v42
	v_max_f32_e32 v39, v1, v39
	ds_bpermute_b32 v42, v50, v39
	v_cmp_lt_i32_e32 vcc, v44, v40
	s_waitcnt lgkmcnt(0)
	v_max_f32_e32 v42, v42, v42
	v_cndmask_b32_e32 v1, v6, v44, vcc
	v_lshlrev_b32_e32 v1, 2, v1
	v_max_f32_e32 v39, v39, v42
	ds_bpermute_b32 v47, v1, v39
	v_xor_b32_e32 v42, 2, v6
	v_cmp_lt_i32_e32 vcc, v42, v40
	s_waitcnt lgkmcnt(0)
	v_max_f32_e32 v47, v47, v47
	v_cndmask_b32_e32 v48, v6, v42, vcc
	v_lshlrev_b32_e32 v49, 2, v48
	v_max_f32_e32 v47, v39, v47
	ds_bpermute_b32 v51, v49, v47
	v_xor_b32_e32 v39, 1, v6
	v_cmp_lt_i32_e32 vcc, v39, v40
	s_waitcnt lgkmcnt(0)
	v_max_f32_e32 v51, v51, v51
	v_cndmask_b32_e32 v48, v6, v39, vcc
	v_lshlrev_b32_e32 v48, 2, v48
	v_max_f32_e32 v51, v47, v51
	ds_bpermute_b32 v52, v48, v51
                                        ; implicit-def: $vgpr47
	s_and_saveexec_b64 s[26:27], s[6:7]
	s_xor_b64 s[6:7], exec, s[26:27]
	s_cbranch_execz .LBB21_43
; %bb.42:                               ;   in Loop: Header=BB21_37 Depth=1
	v_add_f32_e64 v47, |v38|, |v38|
	v_mul_f32_e32 v53, 0x3fb8aa3b, v47
	v_rndne_f32_e32 v54, v53
	v_sub_f32_e32 v55, v53, v54
	v_fma_f32 v53, v47, s9, -v53
	v_fmac_f32_e32 v53, 0x32a5705f, v47
	v_add_f32_e32 v53, v55, v53
	v_cvt_i32_f32_e32 v54, v54
	v_exp_f32_e32 v53, v53
	v_cmp_ngt_f32_e32 vcc, s15, v47
	v_ldexp_f32 v53, v53, v54
	s_nop 0
	v_cndmask_b32_e32 v53, 0, v53, vcc
	v_cmp_nlt_f32_e32 vcc, s20, v47
	s_nop 1
	v_cndmask_b32_e32 v47, v30, v53, vcc
	v_add_f32_e32 v47, 1.0, v47
	v_rcp_f32_e32 v47, v47
	s_nop 0
	v_fma_f32 v47, v47, -2.0, 1.0
.LBB21_43:                              ;   in Loop: Header=BB21_37 Depth=1
	s_andn2_saveexec_b64 s[6:7], s[6:7]
; %bb.44:                               ;   in Loop: Header=BB21_37 Depth=1
	v_mul_f32_e32 v47, v38, v38
	v_fmamk_f32 v53, v47, 0xbbbac73d, v28
	v_fmaak_f32 v53, v47, v53, 0xbd5c1c4e
	v_fmaak_f32 v53, v47, v53, 0x3e088382
	v_fmaak_f32 v53, v47, v53, 0xbeaaaa99
	v_mul_f32_e64 v53, |v38|, v53
	v_fma_f32 v47, v47, v53, |v38|
; %bb.45:                               ;   in Loop: Header=BB21_37 Depth=1
	s_or_b64 exec, exec, s[6:7]
	v_cvt_f32_f16_e32 v45, v45
	v_bfi_b32 v38, s21, v47, v38
	v_max_f32_e32 v53, v36, v36
	v_cmp_nlt_f32_e64 s[6:7], |v3|, s8
	v_fma_f32 v47, s10, v38, v45
	v_add_f32_e32 v38, 0x40051340, v47
	v_max_f32_e32 v38, v53, v38
	ds_bpermute_b32 v53, v0, v38
	s_waitcnt lgkmcnt(0)
	v_max_f32_e32 v53, v53, v53
	v_max_f32_e32 v38, v38, v53
	ds_bpermute_b32 v53, v50, v38
	s_waitcnt lgkmcnt(0)
	v_max_f32_e32 v53, v53, v53
	;; [unrolled: 4-line block ×4, first 2 shown]
	v_max_f32_e32 v53, v38, v53
	ds_bpermute_b32 v54, v48, v53
                                        ; implicit-def: $vgpr38
	s_and_saveexec_b64 s[26:27], s[6:7]
	s_xor_b64 s[6:7], exec, s[26:27]
	s_cbranch_execz .LBB21_47
; %bb.46:                               ;   in Loop: Header=BB21_37 Depth=1
	v_add_f32_e64 v38, |v3|, |v3|
	v_mul_f32_e32 v55, 0x3fb8aa3b, v38
	v_rndne_f32_e32 v56, v55
	v_sub_f32_e32 v57, v55, v56
	v_fma_f32 v55, v38, s9, -v55
	v_fmac_f32_e32 v55, 0x32a5705f, v38
	v_add_f32_e32 v55, v57, v55
	v_cvt_i32_f32_e32 v56, v56
	v_exp_f32_e32 v55, v55
	v_cmp_ngt_f32_e32 vcc, s15, v38
	v_ldexp_f32 v55, v55, v56
	s_nop 0
	v_cndmask_b32_e32 v55, 0, v55, vcc
	v_cmp_nlt_f32_e32 vcc, s20, v38
	s_nop 1
	v_cndmask_b32_e32 v38, v30, v55, vcc
	v_add_f32_e32 v38, 1.0, v38
	v_rcp_f32_e32 v38, v38
	s_nop 0
	v_fma_f32 v38, v38, -2.0, 1.0
.LBB21_47:                              ;   in Loop: Header=BB21_37 Depth=1
	s_andn2_saveexec_b64 s[6:7], s[6:7]
; %bb.48:                               ;   in Loop: Header=BB21_37 Depth=1
	v_mul_f32_e32 v38, v3, v3
	v_fmamk_f32 v55, v38, 0xbbbac73d, v28
	v_fmaak_f32 v55, v38, v55, 0xbd5c1c4e
	v_fmaak_f32 v55, v38, v55, 0x3e088382
	;; [unrolled: 1-line block ×3, first 2 shown]
	v_mul_f32_e64 v55, |v3|, v55
	v_fma_f32 v38, v38, v55, |v3|
; %bb.49:                               ;   in Loop: Header=BB21_37 Depth=1
	s_or_b64 exec, exec, s[6:7]
	v_bfi_b32 v3, s21, v38, v3
	v_fma_f32 v38, s10, v3, v45
	v_add_f32_e32 v3, 0x40051340, v38
	v_max_f32_e32 v55, v35, v35
	v_max_f32_e32 v3, v55, v3
	ds_bpermute_b32 v55, v0, v3
	v_cmp_nlt_f32_e64 s[6:7], |v2|, s8
                                        ; implicit-def: $vgpr56
	s_waitcnt lgkmcnt(0)
	v_max_f32_e32 v55, v55, v55
	v_max_f32_e32 v3, v3, v55
	ds_bpermute_b32 v55, v50, v3
	s_waitcnt lgkmcnt(0)
	v_max_f32_e32 v55, v55, v55
	v_max_f32_e32 v3, v3, v55
	ds_bpermute_b32 v55, v1, v3
	;; [unrolled: 4-line block ×4, first 2 shown]
	s_and_saveexec_b64 s[26:27], s[6:7]
	s_xor_b64 s[6:7], exec, s[26:27]
	s_cbranch_execz .LBB21_51
; %bb.50:                               ;   in Loop: Header=BB21_37 Depth=1
	v_add_f32_e64 v56, |v2|, |v2|
	v_mul_f32_e32 v57, 0x3fb8aa3b, v56
	v_rndne_f32_e32 v58, v57
	v_sub_f32_e32 v59, v57, v58
	v_fma_f32 v57, v56, s9, -v57
	v_fmac_f32_e32 v57, 0x32a5705f, v56
	v_add_f32_e32 v57, v59, v57
	v_cvt_i32_f32_e32 v58, v58
	v_exp_f32_e32 v57, v57
	v_cmp_ngt_f32_e32 vcc, s15, v56
	v_ldexp_f32 v57, v57, v58
	s_nop 0
	v_cndmask_b32_e32 v57, 0, v57, vcc
	v_cmp_nlt_f32_e32 vcc, s20, v56
	s_nop 1
	v_cndmask_b32_e32 v56, v30, v57, vcc
	v_add_f32_e32 v56, 1.0, v56
	v_rcp_f32_e32 v56, v56
	s_nop 0
	v_fma_f32 v56, v56, -2.0, 1.0
.LBB21_51:                              ;   in Loop: Header=BB21_37 Depth=1
	s_andn2_saveexec_b64 s[6:7], s[6:7]
; %bb.52:                               ;   in Loop: Header=BB21_37 Depth=1
	v_mul_f32_e32 v56, v2, v2
	v_fmamk_f32 v57, v56, 0xbbbac73d, v28
	v_fmaak_f32 v57, v56, v57, 0xbd5c1c4e
	v_fmaak_f32 v57, v56, v57, 0x3e088382
	;; [unrolled: 1-line block ×3, first 2 shown]
	v_mul_f32_e64 v57, |v2|, v57
	v_fma_f32 v56, v56, v57, |v2|
; %bb.53:                               ;   in Loop: Header=BB21_37 Depth=1
	s_or_b64 exec, exec, s[6:7]
	v_bfi_b32 v2, s21, v56, v2
	v_fmac_f32_e32 v45, s10, v2
	v_add_f32_e32 v2, 0x40051340, v45
	v_max_f32_e32 v56, v34, v34
	v_max_f32_e32 v2, v56, v2
	ds_bpermute_b32 v0, v0, v2
	s_waitcnt lgkmcnt(1)
	v_max_f32_e32 v55, v55, v55
	v_max_f32_e32 v3, v3, v3
	;; [unrolled: 1-line block ×4, first 2 shown]
	s_waitcnt lgkmcnt(0)
	v_max_f32_e32 v0, v0, v0
	v_max_f32_e32 v0, v2, v0
	ds_bpermute_b32 v2, v50, v0
	v_max_f32_e32 v50, v53, v53
	v_max_f32_e32 v54, v54, v54
	s_mul_hi_i32 s7, s2, s11
	s_mul_i32 s6, s2, s11
	s_waitcnt lgkmcnt(0)
	v_max_f32_e32 v2, v2, v2
	v_max_f32_e32 v53, v0, v2
	ds_bpermute_b32 v56, v1, v53
	v_max_f32_e32 v2, v3, v55
	v_max_f32_e32 v0, v51, v52
	v_sub_f32_e32 v37, v37, v0
	v_max_f32_e32 v1, v50, v54
	s_waitcnt lgkmcnt(0)
	v_max_f32_e32 v3, v56, v56
	v_max_f32_e32 v3, v53, v3
	ds_bpermute_b32 v49, v49, v3
	v_mul_f32_e32 v50, 0x3fb8aa3b, v37
	v_fma_f32 v51, v37, s9, -v50
	v_rndne_f32_e32 v52, v50
	v_fmac_f32_e32 v51, 0x32a5705f, v37
	s_waitcnt lgkmcnt(0)
	v_max_f32_e32 v49, v49, v49
	v_max_f32_e32 v3, v3, v49
	ds_bpermute_b32 v48, v48, v3
	v_sub_f32_e32 v49, v50, v52
	v_add_f32_e32 v49, v49, v51
	v_cvt_i32_f32_e32 v50, v52
	v_exp_f32_e32 v49, v49
	s_waitcnt lgkmcnt(0)
	v_max_f32_e32 v48, v48, v48
	v_sub_f32_e32 v46, v46, v0
	v_max_f32_e32 v3, v3, v48
	v_ldexp_f32 v48, v49, v50
	v_mul_f32_e32 v49, 0x3fb8aa3b, v46
	v_fma_f32 v50, v46, s9, -v49
	v_rndne_f32_e32 v51, v49
	v_fmac_f32_e32 v50, 0x32a5705f, v46
	v_sub_f32_e32 v49, v49, v51
	v_add_f32_e32 v49, v49, v50
	v_exp_f32_e32 v49, v49
	v_cvt_i32_f32_e32 v51, v51
	v_cmp_ngt_f32_e32 vcc, s15, v37
	s_barrier
	s_nop 0
	v_cndmask_b32_e32 v48, 0, v48, vcc
	v_cmp_nlt_f32_e32 vcc, s20, v37
	v_ldexp_f32 v37, v49, v51
	v_sub_f32_e32 v51, v36, v1
	v_mul_f32_e32 v36, 0x3fb8aa3b, v51
	v_cndmask_b32_e32 v50, v30, v48, vcc
	v_fma_f32 v49, v51, s9, -v36
	v_rndne_f32_e32 v52, v36
	v_cmp_ngt_f32_e32 vcc, s15, v46
	v_cvt_f16_f32_e32 v48, v50
	v_fmac_f32_e32 v49, 0x32a5705f, v51
	v_sub_f32_e32 v36, v36, v52
	v_cndmask_b32_e32 v37, 0, v37, vcc
	v_add_f32_e32 v36, v36, v49
	v_cmp_nlt_f32_e32 vcc, s20, v46
	v_exp_f32_e32 v49, v36
	v_cvt_i32_f32_e32 v52, v52
	v_cndmask_b32_e32 v36, v30, v37, vcc
	v_sub_f32_e32 v37, v47, v1
	v_mul_f32_e32 v46, 0x3fb8aa3b, v37
	v_mul_u32_u24_e32 v62, 0x10001, v48
	v_fma_f32 v47, v37, s9, -v46
	v_rndne_f32_e32 v48, v46
	v_fmac_f32_e32 v47, 0x32a5705f, v37
	v_sub_f32_e32 v46, v46, v48
	v_add_f32_e32 v46, v46, v47
	v_pk_mul_f16 v63, v33, v62
	v_ldexp_f32 v33, v49, v52
	v_exp_f32_e32 v52, v46
	v_lshl_add_u64 v[46:47], s[6:7], 2, v[16:17]
	v_cvt_i32_f32_e32 v53, v48
	global_load_dwordx4 v[46:49], v[46:47], off
	v_cmp_ngt_f32_e32 vcc, s15, v51
	v_sub_f32_e32 v35, v35, v2
	s_or_b32 s6, s2, 16
	v_cndmask_b32_e32 v33, 0, v33, vcc
	v_cmp_nlt_f32_e32 vcc, s20, v51
	s_mul_hi_i32 s7, s6, s11
	s_mul_i32 s6, s6, s11
	v_cndmask_b32_e32 v51, v30, v33, vcc
	v_ldexp_f32 v33, v52, v53
	v_mul_f32_e32 v53, 0x3fb8aa3b, v35
	v_fma_f32 v54, v35, s9, -v53
	v_rndne_f32_e32 v55, v53
	v_fmac_f32_e32 v54, 0x32a5705f, v35
	v_sub_f32_e32 v53, v53, v55
	v_cvt_f16_f32_e32 v52, v51
	v_add_f32_e32 v53, v53, v54
	v_cmp_ngt_f32_e32 vcc, s15, v37
	v_exp_f32_e32 v53, v53
	v_cvt_i32_f32_e32 v54, v55
	v_cndmask_b32_e32 v33, 0, v33, vcc
	v_cmp_nlt_f32_e32 vcc, s20, v37
	v_mul_u32_u24_e32 v64, 0x10001, v52
	v_pk_mul_f16 v65, v32, v64
	v_cndmask_b32_e32 v37, v30, v33, vcc
	v_sub_f32_e32 v33, v38, v2
	v_mul_f32_e32 v38, 0x3fb8aa3b, v33
	v_ldexp_f32 v32, v53, v54
	v_fma_f32 v52, v33, s9, -v38
	v_rndne_f32_e32 v53, v38
	v_fmac_f32_e32 v52, 0x32a5705f, v33
	v_sub_f32_e32 v38, v38, v53
	v_add_f32_e32 v38, v38, v52
	v_exp_f32_e32 v38, v38
	v_cvt_i32_f32_e32 v52, v53
	v_cmp_ngt_f32_e32 vcc, s15, v35
	v_pk_fma_f32 v[10:11], v[10:11], v[50:51], v[36:37]
	s_nop 0
	v_cndmask_b32_e32 v32, 0, v32, vcc
	v_cmp_nlt_f32_e32 vcc, s20, v35
	v_ldexp_f32 v35, v38, v52
	v_sub_f32_e32 v52, v34, v3
	v_mul_f32_e32 v34, 0x3fb8aa3b, v52
	v_fma_f32 v53, v52, s9, -v34
	v_rndne_f32_e32 v54, v34
	v_fmac_f32_e32 v53, 0x32a5705f, v52
	v_sub_f32_e32 v34, v34, v54
	v_add_f32_e32 v34, v34, v53
	v_cndmask_b32_e32 v32, v30, v32, vcc
	v_cmp_ngt_f32_e32 vcc, s15, v33
	v_exp_f32_e32 v53, v34
	v_cvt_i32_f32_e32 v54, v54
	v_cndmask_b32_e32 v35, 0, v35, vcc
	v_cmp_nlt_f32_e32 vcc, s20, v33
	v_cvt_f16_f32_e32 v38, v32
	v_ldexp_f32 v33, v53, v54
	v_cndmask_b32_e32 v34, v30, v35, vcc
	v_sub_f32_e32 v35, v45, v3
	v_mul_f32_e32 v45, 0x3fb8aa3b, v35
	v_fma_f32 v53, v35, s9, -v45
	v_rndne_f32_e32 v54, v45
	v_fmac_f32_e32 v53, 0x32a5705f, v35
	v_sub_f32_e32 v45, v45, v54
	v_add_f32_e32 v45, v45, v53
	v_exp_f32_e32 v45, v45
	v_cvt_i32_f32_e32 v53, v54
	v_cmp_ngt_f32_e32 vcc, s15, v52
	v_mul_u32_u24_e32 v38, 0x10001, v38
	v_pk_mul_f16 v27, v27, v38
	v_cndmask_b32_e32 v33, 0, v33, vcc
	v_cmp_nlt_f32_e32 vcc, s20, v52
	v_ldexp_f32 v45, v45, v53
	s_nop 0
	v_cndmask_b32_e32 v33, v30, v33, vcc
	v_cvt_f16_f32_e32 v52, v33
	v_cmp_ngt_f32_e32 vcc, s15, v35
	s_nop 1
	v_cndmask_b32_e32 v45, 0, v45, vcc
	v_cmp_nlt_f32_e32 vcc, s20, v35
	s_nop 1
	v_cndmask_b32_e32 v35, v30, v45, vcc
	v_pk_fma_f32 v[8:9], v[8:9], v[32:33], v[34:35]
	v_mul_u32_u24_e32 v32, 0x10001, v52
	v_pk_mul_f16 v15, v15, v32
	v_pk_mul_f16 v7, v7, v32
	v_add_u32_e32 v45, v25, v20
	v_cvt_pk_f16_f32 v33, v34, v35
	v_cvt_pk_f16_f32 v32, v36, v37
	ds_write_b64 v45, v[32:33]
	s_waitcnt vmcnt(0)
	ds_write_b128 v26, v[46:49]
	s_waitcnt lgkmcnt(0)
	s_barrier
	v_add_u32_e32 v36, 0x3000, v20
	ds_read_b128 v[32:35], v25
	ds_read2_b64 v[46:49], v36 offset1:32
	ds_read_b128 v[50:53], v25 offset:16
	ds_read_b128 v[54:57], v25 offset:32
	;; [unrolled: 1-line block ×3, first 2 shown]
	s_waitcnt lgkmcnt(4)
	v_mul_u32_u24_sdwa v37, v32, s24 dst_sel:DWORD dst_unused:UNUSED_PAD src0_sel:WORD_0 src1_sel:DWORD
	v_mul_u32_u24_sdwa v32, v32, s24 dst_sel:DWORD dst_unused:UNUSED_PAD src0_sel:WORD_1 src1_sel:DWORD
	s_waitcnt lgkmcnt(3)
	v_pk_mul_f16 v66, v46, v37
	v_mul_u32_u24_sdwa v45, v33, s24 dst_sel:DWORD dst_unused:UNUSED_PAD src0_sel:WORD_0 src1_sel:DWORD
	v_pk_fma_f16 v31, v31, v62, v66
	v_pk_mul_f16 v62, v46, v32
	v_mul_u32_u24_sdwa v33, v33, s24 dst_sel:DWORD dst_unused:UNUSED_PAD src0_sel:WORD_1 src1_sel:DWORD
	v_pk_fma_f16 v29, v29, v64, v62
	v_pk_mul_f16 v62, v46, v45
	v_pk_fma_f16 v15, v46, v33, v15
	v_pk_fma_f16 v22, v22, v38, v62
	;; [unrolled: 1-line block ×5, first 2 shown]
	v_mul_u32_u24_sdwa v33, v34, s24 dst_sel:DWORD dst_unused:UNUSED_PAD src0_sel:WORD_0 src1_sel:DWORD
	v_mul_u32_u24_sdwa v34, v34, s24 dst_sel:DWORD dst_unused:UNUSED_PAD src0_sel:WORD_1 src1_sel:DWORD
	v_mul_u32_u24_sdwa v38, v35, s24 dst_sel:DWORD dst_unused:UNUSED_PAD src0_sel:WORD_0 src1_sel:DWORD
	v_mul_u32_u24_sdwa v35, v35, s24 dst_sel:DWORD dst_unused:UNUSED_PAD src0_sel:WORD_1 src1_sel:DWORD
	v_pk_fma_f16 v27, v47, v45, v27
	v_pk_fma_f16 v31, v48, v33, v31
	v_pk_fma_f16 v29, v48, v34, v29
	v_pk_fma_f16 v15, v48, v35, v15
	v_pk_fma_f16 v37, v49, v33, v37
	v_pk_fma_f16 v45, v49, v34, v32
	v_pk_fma_f16 v7, v49, v35, v7
	ds_read2_b64 v[32:35], v36 offset0:64 offset1:96
	v_pk_fma_f16 v22, v48, v38, v22
	v_pk_fma_f16 v27, v49, v38, v27
	s_waitcnt lgkmcnt(3)
	v_mul_u32_u24_sdwa v38, v50, s24 dst_sel:DWORD dst_unused:UNUSED_PAD src0_sel:WORD_0 src1_sel:DWORD
	v_mul_u32_u24_sdwa v46, v50, s24 dst_sel:DWORD dst_unused:UNUSED_PAD src0_sel:WORD_1 src1_sel:DWORD
	v_mul_u32_u24_sdwa v47, v51, s24 dst_sel:DWORD dst_unused:UNUSED_PAD src0_sel:WORD_0 src1_sel:DWORD
	v_mul_u32_u24_sdwa v48, v51, s24 dst_sel:DWORD dst_unused:UNUSED_PAD src0_sel:WORD_1 src1_sel:DWORD
	s_waitcnt lgkmcnt(0)
	v_pk_fma_f16 v31, v32, v38, v31
	v_pk_fma_f16 v29, v32, v46, v29
	;; [unrolled: 1-line block ×8, first 2 shown]
	v_mul_u32_u24_sdwa v33, v52, s24 dst_sel:DWORD dst_unused:UNUSED_PAD src0_sel:WORD_0 src1_sel:DWORD
	v_mul_u32_u24_sdwa v38, v52, s24 dst_sel:DWORD dst_unused:UNUSED_PAD src0_sel:WORD_1 src1_sel:DWORD
	v_mul_u32_u24_sdwa v45, v53, s24 dst_sel:DWORD dst_unused:UNUSED_PAD src0_sel:WORD_0 src1_sel:DWORD
	v_mul_u32_u24_sdwa v46, v53, s24 dst_sel:DWORD dst_unused:UNUSED_PAD src0_sel:WORD_1 src1_sel:DWORD
	v_pk_fma_f16 v31, v34, v33, v31
	v_pk_fma_f16 v29, v34, v38, v29
	v_pk_fma_f16 v22, v34, v45, v22
	v_pk_fma_f16 v15, v34, v46, v15
	v_pk_fma_f16 v47, v35, v33, v32
	v_pk_fma_f16 v37, v35, v38, v37
	v_pk_fma_f16 v27, v35, v45, v27
	v_pk_fma_f16 v7, v35, v46, v7
	ds_read2_b64 v[32:35], v36 offset0:128 offset1:160
	v_mul_u32_u24_sdwa v38, v54, s24 dst_sel:DWORD dst_unused:UNUSED_PAD src0_sel:WORD_0 src1_sel:DWORD
	v_mul_u32_u24_sdwa v45, v54, s24 dst_sel:DWORD dst_unused:UNUSED_PAD src0_sel:WORD_1 src1_sel:DWORD
	v_mul_u32_u24_sdwa v46, v55, s24 dst_sel:DWORD dst_unused:UNUSED_PAD src0_sel:WORD_0 src1_sel:DWORD
	v_mul_u32_u24_sdwa v48, v55, s24 dst_sel:DWORD dst_unused:UNUSED_PAD src0_sel:WORD_1 src1_sel:DWORD
	s_waitcnt lgkmcnt(0)
	v_pk_fma_f16 v31, v32, v38, v31
	v_pk_fma_f16 v29, v32, v45, v29
	;; [unrolled: 1-line block ×8, first 2 shown]
	v_mul_u32_u24_sdwa v33, v56, s24 dst_sel:DWORD dst_unused:UNUSED_PAD src0_sel:WORD_0 src1_sel:DWORD
	v_mul_u32_u24_sdwa v38, v56, s24 dst_sel:DWORD dst_unused:UNUSED_PAD src0_sel:WORD_1 src1_sel:DWORD
	v_mul_u32_u24_sdwa v45, v57, s24 dst_sel:DWORD dst_unused:UNUSED_PAD src0_sel:WORD_0 src1_sel:DWORD
	v_mul_u32_u24_sdwa v46, v57, s24 dst_sel:DWORD dst_unused:UNUSED_PAD src0_sel:WORD_1 src1_sel:DWORD
	v_pk_fma_f16 v31, v34, v33, v31
	v_pk_fma_f16 v29, v34, v38, v29
	;; [unrolled: 1-line block ×8, first 2 shown]
	ds_read2_b64 v[32:35], v36 offset0:192 offset1:224
	v_mul_u32_u24_sdwa v38, v58, s24 dst_sel:DWORD dst_unused:UNUSED_PAD src0_sel:WORD_0 src1_sel:DWORD
	v_mul_u32_u24_sdwa v45, v58, s24 dst_sel:DWORD dst_unused:UNUSED_PAD src0_sel:WORD_1 src1_sel:DWORD
	v_mul_u32_u24_sdwa v46, v59, s24 dst_sel:DWORD dst_unused:UNUSED_PAD src0_sel:WORD_0 src1_sel:DWORD
	v_mul_u32_u24_sdwa v48, v59, s24 dst_sel:DWORD dst_unused:UNUSED_PAD src0_sel:WORD_1 src1_sel:DWORD
	s_waitcnt lgkmcnt(0)
	v_pk_fma_f16 v31, v32, v38, v31
	v_pk_fma_f16 v29, v32, v45, v29
	;; [unrolled: 1-line block ×8, first 2 shown]
	v_mul_u32_u24_sdwa v38, v60, s24 dst_sel:DWORD dst_unused:UNUSED_PAD src0_sel:WORD_1 src1_sel:DWORD
	ds_read_b128 v[46:49], v25 offset:64
	v_mul_u32_u24_sdwa v33, v60, s24 dst_sel:DWORD dst_unused:UNUSED_PAD src0_sel:WORD_0 src1_sel:DWORD
	v_mul_u32_u24_sdwa v45, v61, s24 dst_sel:DWORD dst_unused:UNUSED_PAD src0_sel:WORD_0 src1_sel:DWORD
	v_mul_u32_u24_sdwa v50, v61, s24 dst_sel:DWORD dst_unused:UNUSED_PAD src0_sel:WORD_1 src1_sel:DWORD
	v_pk_fma_f16 v29, v34, v38, v29
	v_pk_fma_f16 v37, v35, v38, v37
	v_add_u32_e32 v38, 0x3800, v20
	v_pk_fma_f16 v31, v34, v33, v31
	v_pk_fma_f16 v22, v34, v45, v22
	;; [unrolled: 1-line block ×6, first 2 shown]
	ds_read2_b64 v[32:35], v38 offset1:32
	ds_read_b128 v[50:53], v25 offset:80
	s_waitcnt lgkmcnt(2)
	v_mul_u32_u24_sdwa v45, v46, s24 dst_sel:DWORD dst_unused:UNUSED_PAD src0_sel:WORD_0 src1_sel:DWORD
	v_mul_u32_u24_sdwa v46, v46, s24 dst_sel:DWORD dst_unused:UNUSED_PAD src0_sel:WORD_1 src1_sel:DWORD
	v_mul_u32_u24_sdwa v55, v47, s24 dst_sel:DWORD dst_unused:UNUSED_PAD src0_sel:WORD_0 src1_sel:DWORD
	v_mul_u32_u24_sdwa v47, v47, s24 dst_sel:DWORD dst_unused:UNUSED_PAD src0_sel:WORD_1 src1_sel:DWORD
	s_waitcnt lgkmcnt(1)
	v_pk_fma_f16 v31, v32, v45, v31
	v_pk_fma_f16 v29, v32, v46, v29
	;; [unrolled: 1-line block ×8, first 2 shown]
	v_lshl_add_u64 v[32:33], s[6:7], 2, v[16:17]
	v_mul_u32_u24_sdwa v74, v48, s24 dst_sel:DWORD dst_unused:UNUSED_PAD src0_sel:WORD_0 src1_sel:DWORD
	v_mul_u32_u24_sdwa v75, v48, s24 dst_sel:DWORD dst_unused:UNUSED_PAD src0_sel:WORD_1 src1_sel:DWORD
	v_mul_u32_u24_sdwa v76, v49, s24 dst_sel:DWORD dst_unused:UNUSED_PAD src0_sel:WORD_0 src1_sel:DWORD
	v_mul_u32_u24_sdwa v77, v49, s24 dst_sel:DWORD dst_unused:UNUSED_PAD src0_sel:WORD_1 src1_sel:DWORD
	ds_read2_b64 v[46:49], v38 offset0:64 offset1:96
	ds_read2_b64 v[54:57], v38 offset0:128 offset1:160
	;; [unrolled: 1-line block ×3, first 2 shown]
	ds_read_b128 v[62:65], v25 offset:96
	ds_read_b128 v[66:69], v25 offset:112
	s_waitcnt lgkmcnt(0)
	s_barrier
	global_load_dwordx4 v[70:73], v[32:33], off
	v_pk_fma_f16 v31, v34, v74, v31
	v_pk_fma_f16 v29, v34, v75, v29
	v_pk_fma_f16 v22, v34, v76, v22
	v_pk_fma_f16 v15, v34, v77, v15
	v_pk_fma_f16 v32, v35, v74, v45
	v_pk_fma_f16 v33, v35, v75, v37
	v_pk_fma_f16 v27, v35, v76, v27
	v_pk_fma_f16 v7, v35, v77, v7
	v_mul_u32_u24_sdwa v34, v50, s24 dst_sel:DWORD dst_unused:UNUSED_PAD src0_sel:WORD_0 src1_sel:DWORD
	v_mul_u32_u24_sdwa v35, v50, s24 dst_sel:DWORD dst_unused:UNUSED_PAD src0_sel:WORD_1 src1_sel:DWORD
	v_mul_u32_u24_sdwa v37, v51, s24 dst_sel:DWORD dst_unused:UNUSED_PAD src0_sel:WORD_0 src1_sel:DWORD
	v_mul_u32_u24_sdwa v45, v51, s24 dst_sel:DWORD dst_unused:UNUSED_PAD src0_sel:WORD_1 src1_sel:DWORD
	v_pk_fma_f16 v31, v46, v34, v31
	v_pk_fma_f16 v29, v46, v35, v29
	v_pk_fma_f16 v22, v46, v37, v22
	v_pk_fma_f16 v15, v46, v45, v15
	v_pk_fma_f16 v32, v47, v34, v32
	v_pk_fma_f16 v33, v47, v35, v33
	v_pk_fma_f16 v27, v47, v37, v27
	v_pk_fma_f16 v7, v47, v45, v7
	v_mul_u32_u24_sdwa v34, v52, s24 dst_sel:DWORD dst_unused:UNUSED_PAD src0_sel:WORD_0 src1_sel:DWORD
	v_mul_u32_u24_sdwa v35, v52, s24 dst_sel:DWORD dst_unused:UNUSED_PAD src0_sel:WORD_1 src1_sel:DWORD
	v_mul_u32_u24_sdwa v37, v53, s24 dst_sel:DWORD dst_unused:UNUSED_PAD src0_sel:WORD_0 src1_sel:DWORD
	v_mul_u32_u24_sdwa v45, v53, s24 dst_sel:DWORD dst_unused:UNUSED_PAD src0_sel:WORD_1 src1_sel:DWORD
	;; [unrolled: 12-line block ×6, first 2 shown]
	v_pk_fma_f16 v31, v60, v34, v31
	v_pk_fma_f16 v29, v60, v35, v29
	;; [unrolled: 1-line block ×8, first 2 shown]
	s_waitcnt vmcnt(0)
	ds_write_b128 v26, v[70:73]
	s_waitcnt lgkmcnt(0)
	s_barrier
	ds_read_b128 v[32:35], v25 offset:128
	ds_read2_b64 v[46:49], v36 offset1:32
	ds_read_b128 v[50:53], v25 offset:144
	ds_read_b128 v[54:57], v25 offset:160
	;; [unrolled: 1-line block ×3, first 2 shown]
	s_waitcnt lgkmcnt(4)
	v_mul_u32_u24_sdwa v37, v32, s24 dst_sel:DWORD dst_unused:UNUSED_PAD src0_sel:WORD_0 src1_sel:DWORD
	v_mul_u32_u24_sdwa v32, v32, s24 dst_sel:DWORD dst_unused:UNUSED_PAD src0_sel:WORD_1 src1_sel:DWORD
	v_mul_u32_u24_sdwa v45, v33, s24 dst_sel:DWORD dst_unused:UNUSED_PAD src0_sel:WORD_0 src1_sel:DWORD
	v_mul_u32_u24_sdwa v33, v33, s24 dst_sel:DWORD dst_unused:UNUSED_PAD src0_sel:WORD_1 src1_sel:DWORD
	s_waitcnt lgkmcnt(3)
	v_pk_fma_f16 v31, v46, v37, v31
	v_pk_fma_f16 v29, v46, v32, v29
	;; [unrolled: 1-line block ×8, first 2 shown]
	v_mul_u32_u24_sdwa v33, v34, s24 dst_sel:DWORD dst_unused:UNUSED_PAD src0_sel:WORD_0 src1_sel:DWORD
	v_mul_u32_u24_sdwa v34, v34, s24 dst_sel:DWORD dst_unused:UNUSED_PAD src0_sel:WORD_1 src1_sel:DWORD
	v_mul_u32_u24_sdwa v45, v35, s24 dst_sel:DWORD dst_unused:UNUSED_PAD src0_sel:WORD_0 src1_sel:DWORD
	v_mul_u32_u24_sdwa v35, v35, s24 dst_sel:DWORD dst_unused:UNUSED_PAD src0_sel:WORD_1 src1_sel:DWORD
	v_pk_fma_f16 v31, v48, v33, v31
	v_pk_fma_f16 v29, v48, v34, v29
	;; [unrolled: 1-line block ×6, first 2 shown]
	ds_read2_b64 v[32:35], v36 offset0:64 offset1:96
	v_pk_fma_f16 v22, v48, v45, v22
	v_pk_fma_f16 v27, v49, v45, v27
	s_waitcnt lgkmcnt(3)
	v_mul_u32_u24_sdwa v45, v50, s24 dst_sel:DWORD dst_unused:UNUSED_PAD src0_sel:WORD_0 src1_sel:DWORD
	v_mul_u32_u24_sdwa v47, v50, s24 dst_sel:DWORD dst_unused:UNUSED_PAD src0_sel:WORD_1 src1_sel:DWORD
	v_mul_u32_u24_sdwa v48, v51, s24 dst_sel:DWORD dst_unused:UNUSED_PAD src0_sel:WORD_0 src1_sel:DWORD
	v_mul_u32_u24_sdwa v49, v51, s24 dst_sel:DWORD dst_unused:UNUSED_PAD src0_sel:WORD_1 src1_sel:DWORD
	s_waitcnt lgkmcnt(0)
	v_pk_fma_f16 v31, v32, v45, v31
	v_pk_fma_f16 v29, v32, v47, v29
	;; [unrolled: 1-line block ×8, first 2 shown]
	v_mul_u32_u24_sdwa v33, v52, s24 dst_sel:DWORD dst_unused:UNUSED_PAD src0_sel:WORD_0 src1_sel:DWORD
	v_mul_u32_u24_sdwa v45, v52, s24 dst_sel:DWORD dst_unused:UNUSED_PAD src0_sel:WORD_1 src1_sel:DWORD
	v_mul_u32_u24_sdwa v46, v53, s24 dst_sel:DWORD dst_unused:UNUSED_PAD src0_sel:WORD_0 src1_sel:DWORD
	v_mul_u32_u24_sdwa v47, v53, s24 dst_sel:DWORD dst_unused:UNUSED_PAD src0_sel:WORD_1 src1_sel:DWORD
	v_pk_fma_f16 v31, v34, v33, v31
	v_pk_fma_f16 v29, v34, v45, v29
	;; [unrolled: 1-line block ×8, first 2 shown]
	ds_read2_b64 v[32:35], v36 offset0:128 offset1:160
	v_mul_u32_u24_sdwa v45, v54, s24 dst_sel:DWORD dst_unused:UNUSED_PAD src0_sel:WORD_0 src1_sel:DWORD
	v_mul_u32_u24_sdwa v46, v54, s24 dst_sel:DWORD dst_unused:UNUSED_PAD src0_sel:WORD_1 src1_sel:DWORD
	v_mul_u32_u24_sdwa v47, v55, s24 dst_sel:DWORD dst_unused:UNUSED_PAD src0_sel:WORD_0 src1_sel:DWORD
	v_mul_u32_u24_sdwa v49, v55, s24 dst_sel:DWORD dst_unused:UNUSED_PAD src0_sel:WORD_1 src1_sel:DWORD
	s_waitcnt lgkmcnt(0)
	v_pk_fma_f16 v31, v32, v45, v31
	v_pk_fma_f16 v29, v32, v46, v29
	;; [unrolled: 1-line block ×8, first 2 shown]
	v_mul_u32_u24_sdwa v33, v56, s24 dst_sel:DWORD dst_unused:UNUSED_PAD src0_sel:WORD_0 src1_sel:DWORD
	v_mul_u32_u24_sdwa v45, v56, s24 dst_sel:DWORD dst_unused:UNUSED_PAD src0_sel:WORD_1 src1_sel:DWORD
	v_mul_u32_u24_sdwa v46, v57, s24 dst_sel:DWORD dst_unused:UNUSED_PAD src0_sel:WORD_0 src1_sel:DWORD
	v_mul_u32_u24_sdwa v47, v57, s24 dst_sel:DWORD dst_unused:UNUSED_PAD src0_sel:WORD_1 src1_sel:DWORD
	v_pk_fma_f16 v31, v34, v33, v31
	v_pk_fma_f16 v29, v34, v45, v29
	;; [unrolled: 1-line block ×8, first 2 shown]
	ds_read2_b64 v[32:35], v36 offset0:192 offset1:224
	v_mul_u32_u24_sdwa v36, v58, s24 dst_sel:DWORD dst_unused:UNUSED_PAD src0_sel:WORD_0 src1_sel:DWORD
	v_mul_u32_u24_sdwa v45, v58, s24 dst_sel:DWORD dst_unused:UNUSED_PAD src0_sel:WORD_1 src1_sel:DWORD
	v_mul_u32_u24_sdwa v46, v59, s24 dst_sel:DWORD dst_unused:UNUSED_PAD src0_sel:WORD_0 src1_sel:DWORD
	v_mul_u32_u24_sdwa v47, v59, s24 dst_sel:DWORD dst_unused:UNUSED_PAD src0_sel:WORD_1 src1_sel:DWORD
	s_waitcnt lgkmcnt(0)
	v_pk_fma_f16 v31, v32, v36, v31
	v_pk_fma_f16 v29, v32, v45, v29
	;; [unrolled: 1-line block ×7, first 2 shown]
	ds_read_b128 v[46:49], v25 offset:192
	v_pk_fma_f16 v36, v33, v45, v37
	v_mul_u32_u24_sdwa v33, v60, s24 dst_sel:DWORD dst_unused:UNUSED_PAD src0_sel:WORD_0 src1_sel:DWORD
	v_mul_u32_u24_sdwa v37, v60, s24 dst_sel:DWORD dst_unused:UNUSED_PAD src0_sel:WORD_1 src1_sel:DWORD
	v_mul_u32_u24_sdwa v45, v61, s24 dst_sel:DWORD dst_unused:UNUSED_PAD src0_sel:WORD_0 src1_sel:DWORD
	v_mul_u32_u24_sdwa v50, v61, s24 dst_sel:DWORD dst_unused:UNUSED_PAD src0_sel:WORD_1 src1_sel:DWORD
	v_pk_fma_f16 v31, v34, v33, v31
	v_pk_fma_f16 v29, v34, v37, v29
	v_pk_fma_f16 v22, v34, v45, v22
	v_pk_fma_f16 v15, v34, v50, v15
	v_pk_fma_f16 v54, v35, v33, v32
	v_pk_fma_f16 v36, v35, v37, v36
	v_pk_fma_f16 v27, v35, v45, v27
	v_pk_fma_f16 v7, v35, v50, v7
	ds_read2_b64 v[32:35], v38 offset1:32
	ds_read_b128 v[50:53], v25 offset:208
	s_waitcnt lgkmcnt(2)
	v_mul_u32_u24_sdwa v37, v46, s24 dst_sel:DWORD dst_unused:UNUSED_PAD src0_sel:WORD_0 src1_sel:DWORD
	v_mul_u32_u24_sdwa v45, v46, s24 dst_sel:DWORD dst_unused:UNUSED_PAD src0_sel:WORD_1 src1_sel:DWORD
	v_mul_u32_u24_sdwa v46, v47, s24 dst_sel:DWORD dst_unused:UNUSED_PAD src0_sel:WORD_0 src1_sel:DWORD
	v_mul_u32_u24_sdwa v47, v47, s24 dst_sel:DWORD dst_unused:UNUSED_PAD src0_sel:WORD_1 src1_sel:DWORD
	s_waitcnt lgkmcnt(1)
	v_pk_fma_f16 v31, v32, v37, v31
	v_pk_fma_f16 v29, v32, v45, v29
	;; [unrolled: 1-line block ×8, first 2 shown]
	v_mul_u32_u24_sdwa v33, v48, s24 dst_sel:DWORD dst_unused:UNUSED_PAD src0_sel:WORD_0 src1_sel:DWORD
	v_mul_u32_u24_sdwa v37, v48, s24 dst_sel:DWORD dst_unused:UNUSED_PAD src0_sel:WORD_1 src1_sel:DWORD
	v_mul_u32_u24_sdwa v45, v49, s24 dst_sel:DWORD dst_unused:UNUSED_PAD src0_sel:WORD_0 src1_sel:DWORD
	v_mul_u32_u24_sdwa v46, v49, s24 dst_sel:DWORD dst_unused:UNUSED_PAD src0_sel:WORD_1 src1_sel:DWORD
	v_pk_fma_f16 v31, v34, v33, v31
	v_pk_fma_f16 v29, v34, v37, v29
	;; [unrolled: 1-line block ×8, first 2 shown]
	ds_read2_b64 v[32:35], v38 offset0:64 offset1:96
	s_waitcnt lgkmcnt(1)
	v_mul_u32_u24_sdwa v37, v50, s24 dst_sel:DWORD dst_unused:UNUSED_PAD src0_sel:WORD_0 src1_sel:DWORD
	v_mul_u32_u24_sdwa v45, v50, s24 dst_sel:DWORD dst_unused:UNUSED_PAD src0_sel:WORD_1 src1_sel:DWORD
	v_mul_u32_u24_sdwa v46, v51, s24 dst_sel:DWORD dst_unused:UNUSED_PAD src0_sel:WORD_0 src1_sel:DWORD
	v_mul_u32_u24_sdwa v48, v51, s24 dst_sel:DWORD dst_unused:UNUSED_PAD src0_sel:WORD_1 src1_sel:DWORD
	s_waitcnt lgkmcnt(0)
	v_pk_fma_f16 v31, v32, v37, v31
	v_pk_fma_f16 v29, v32, v45, v29
	;; [unrolled: 1-line block ×7, first 2 shown]
	ds_read_b128 v[46:49], v25 offset:224
	v_pk_fma_f16 v36, v33, v45, v36
	v_mul_u32_u24_sdwa v33, v52, s24 dst_sel:DWORD dst_unused:UNUSED_PAD src0_sel:WORD_0 src1_sel:DWORD
	v_mul_u32_u24_sdwa v37, v52, s24 dst_sel:DWORD dst_unused:UNUSED_PAD src0_sel:WORD_1 src1_sel:DWORD
	v_mul_u32_u24_sdwa v45, v53, s24 dst_sel:DWORD dst_unused:UNUSED_PAD src0_sel:WORD_0 src1_sel:DWORD
	v_mul_u32_u24_sdwa v50, v53, s24 dst_sel:DWORD dst_unused:UNUSED_PAD src0_sel:WORD_1 src1_sel:DWORD
	v_pk_fma_f16 v31, v34, v33, v31
	v_pk_fma_f16 v29, v34, v37, v29
	;; [unrolled: 1-line block ×8, first 2 shown]
	ds_read2_b64 v[32:35], v38 offset0:128 offset1:160
	ds_read_b128 v[50:53], v25 offset:240
	s_waitcnt lgkmcnt(2)
	v_mul_u32_u24_sdwa v37, v46, s24 dst_sel:DWORD dst_unused:UNUSED_PAD src0_sel:WORD_0 src1_sel:DWORD
	v_mul_u32_u24_sdwa v45, v46, s24 dst_sel:DWORD dst_unused:UNUSED_PAD src0_sel:WORD_1 src1_sel:DWORD
	v_mul_u32_u24_sdwa v46, v47, s24 dst_sel:DWORD dst_unused:UNUSED_PAD src0_sel:WORD_0 src1_sel:DWORD
	v_mul_u32_u24_sdwa v47, v47, s24 dst_sel:DWORD dst_unused:UNUSED_PAD src0_sel:WORD_1 src1_sel:DWORD
	s_waitcnt lgkmcnt(1)
	v_pk_fma_f16 v31, v32, v37, v31
	v_pk_fma_f16 v29, v32, v45, v29
	;; [unrolled: 1-line block ×8, first 2 shown]
	v_mul_u32_u24_sdwa v33, v48, s24 dst_sel:DWORD dst_unused:UNUSED_PAD src0_sel:WORD_0 src1_sel:DWORD
	v_mul_u32_u24_sdwa v37, v48, s24 dst_sel:DWORD dst_unused:UNUSED_PAD src0_sel:WORD_1 src1_sel:DWORD
	v_mul_u32_u24_sdwa v45, v49, s24 dst_sel:DWORD dst_unused:UNUSED_PAD src0_sel:WORD_0 src1_sel:DWORD
	v_mul_u32_u24_sdwa v46, v49, s24 dst_sel:DWORD dst_unused:UNUSED_PAD src0_sel:WORD_1 src1_sel:DWORD
	v_pk_fma_f16 v31, v34, v33, v31
	v_pk_fma_f16 v29, v34, v37, v29
	;; [unrolled: 1-line block ×8, first 2 shown]
	ds_read2_b64 v[32:35], v38 offset0:192 offset1:224
	s_waitcnt lgkmcnt(0)
	s_barrier
	s_load_dword s6, s[4:5], 0x4
	v_mul_u32_u24_sdwa v37, v50, s24 dst_sel:DWORD dst_unused:UNUSED_PAD src0_sel:WORD_0 src1_sel:DWORD
	v_mul_u32_u24_sdwa v38, v50, s24 dst_sel:DWORD dst_unused:UNUSED_PAD src0_sel:WORD_1 src1_sel:DWORD
	v_mul_u32_u24_sdwa v45, v51, s24 dst_sel:DWORD dst_unused:UNUSED_PAD src0_sel:WORD_0 src1_sel:DWORD
	v_mul_u32_u24_sdwa v46, v51, s24 dst_sel:DWORD dst_unused:UNUSED_PAD src0_sel:WORD_1 src1_sel:DWORD
	s_waitcnt lgkmcnt(0)
	s_lshl_b32 s6, s6, 5
	v_pk_fma_f16 v31, v32, v37, v31
	v_pk_fma_f16 v29, v32, v38, v29
	;; [unrolled: 1-line block ×8, first 2 shown]
	v_mul_u32_u24_sdwa v33, v52, s24 dst_sel:DWORD dst_unused:UNUSED_PAD src0_sel:WORD_0 src1_sel:DWORD
	v_mul_u32_u24_sdwa v37, v52, s24 dst_sel:DWORD dst_unused:UNUSED_PAD src0_sel:WORD_1 src1_sel:DWORD
	v_mul_u32_u24_sdwa v38, v53, s24 dst_sel:DWORD dst_unused:UNUSED_PAD src0_sel:WORD_0 src1_sel:DWORD
	v_mul_u32_u24_sdwa v45, v53, s24 dst_sel:DWORD dst_unused:UNUSED_PAD src0_sel:WORD_1 src1_sel:DWORD
	s_add_i32 s2, s6, s2
	v_pk_fma_f16 v31, v34, v33, v31
	v_pk_fma_f16 v29, v34, v37, v29
	;; [unrolled: 1-line block ×7, first 2 shown]
	s_cmp_ge_i32 s2, s28
	v_pk_fma_f16 v7, v35, v45, v7
	s_cbranch_scc1 .LBB21_15
; %bb.54:                               ;   in Loop: Header=BB21_37 Depth=1
	v_mov_b32_e32 v37, v0
	v_mov_b32_e32 v36, v1
	v_mov_b32_e32 v35, v2
	v_mov_b32_e32 v34, v3
	s_branch .LBB21_37
	.section	.rodata,"a",@progbits
	.p2align	6, 0x0
	.amdhsa_kernel _ZL15flash_attn_tileILi192ELi128ELi4ELi8ELb1EEvPKcS1_S1_S1_S1_PKiPfP15HIP_vector_typeIfLj2EEffffjfiS5_IjLj3EEiiiiiiiiiiiliiliiiiil
		.amdhsa_group_segment_fixed_size 18944
		.amdhsa_private_segment_fixed_size 0
		.amdhsa_kernarg_size 464
		.amdhsa_user_sgpr_count 2
		.amdhsa_user_sgpr_dispatch_ptr 0
		.amdhsa_user_sgpr_queue_ptr 0
		.amdhsa_user_sgpr_kernarg_segment_ptr 1
		.amdhsa_user_sgpr_dispatch_id 0
		.amdhsa_user_sgpr_kernarg_preload_length 0
		.amdhsa_user_sgpr_kernarg_preload_offset 0
		.amdhsa_user_sgpr_private_segment_size 0
		.amdhsa_uses_dynamic_stack 0
		.amdhsa_enable_private_segment 0
		.amdhsa_system_sgpr_workgroup_id_x 1
		.amdhsa_system_sgpr_workgroup_id_y 1
		.amdhsa_system_sgpr_workgroup_id_z 1
		.amdhsa_system_sgpr_workgroup_info 0
		.amdhsa_system_vgpr_workitem_id 1
		.amdhsa_next_free_vgpr 78
		.amdhsa_next_free_sgpr 44
		.amdhsa_accum_offset 80
		.amdhsa_reserve_vcc 1
		.amdhsa_float_round_mode_32 0
		.amdhsa_float_round_mode_16_64 0
		.amdhsa_float_denorm_mode_32 3
		.amdhsa_float_denorm_mode_16_64 3
		.amdhsa_dx10_clamp 1
		.amdhsa_ieee_mode 1
		.amdhsa_fp16_overflow 0
		.amdhsa_tg_split 0
		.amdhsa_exception_fp_ieee_invalid_op 0
		.amdhsa_exception_fp_denorm_src 0
		.amdhsa_exception_fp_ieee_div_zero 0
		.amdhsa_exception_fp_ieee_overflow 0
		.amdhsa_exception_fp_ieee_underflow 0
		.amdhsa_exception_fp_ieee_inexact 0
		.amdhsa_exception_int_div_zero 0
	.end_amdhsa_kernel
	.section	.text._ZL15flash_attn_tileILi192ELi128ELi4ELi8ELb1EEvPKcS1_S1_S1_S1_PKiPfP15HIP_vector_typeIfLj2EEffffjfiS5_IjLj3EEiiiiiiiiiiiliiliiiiil,"axG",@progbits,_ZL15flash_attn_tileILi192ELi128ELi4ELi8ELb1EEvPKcS1_S1_S1_S1_PKiPfP15HIP_vector_typeIfLj2EEffffjfiS5_IjLj3EEiiiiiiiiiiiliiliiiiil,comdat
.Lfunc_end21:
	.size	_ZL15flash_attn_tileILi192ELi128ELi4ELi8ELb1EEvPKcS1_S1_S1_S1_PKiPfP15HIP_vector_typeIfLj2EEffffjfiS5_IjLj3EEiiiiiiiiiiiliiliiiiil, .Lfunc_end21-_ZL15flash_attn_tileILi192ELi128ELi4ELi8ELb1EEvPKcS1_S1_S1_S1_PKiPfP15HIP_vector_typeIfLj2EEffffjfiS5_IjLj3EEiiiiiiiiiiiliiliiiiil
                                        ; -- End function
	.set _ZL15flash_attn_tileILi192ELi128ELi4ELi8ELb1EEvPKcS1_S1_S1_S1_PKiPfP15HIP_vector_typeIfLj2EEffffjfiS5_IjLj3EEiiiiiiiiiiiliiliiiiil.num_vgpr, 78
	.set _ZL15flash_attn_tileILi192ELi128ELi4ELi8ELb1EEvPKcS1_S1_S1_S1_PKiPfP15HIP_vector_typeIfLj2EEffffjfiS5_IjLj3EEiiiiiiiiiiiliiliiiiil.num_agpr, 0
	.set _ZL15flash_attn_tileILi192ELi128ELi4ELi8ELb1EEvPKcS1_S1_S1_S1_PKiPfP15HIP_vector_typeIfLj2EEffffjfiS5_IjLj3EEiiiiiiiiiiiliiliiiiil.numbered_sgpr, 44
	.set _ZL15flash_attn_tileILi192ELi128ELi4ELi8ELb1EEvPKcS1_S1_S1_S1_PKiPfP15HIP_vector_typeIfLj2EEffffjfiS5_IjLj3EEiiiiiiiiiiiliiliiiiil.num_named_barrier, 0
	.set _ZL15flash_attn_tileILi192ELi128ELi4ELi8ELb1EEvPKcS1_S1_S1_S1_PKiPfP15HIP_vector_typeIfLj2EEffffjfiS5_IjLj3EEiiiiiiiiiiiliiliiiiil.private_seg_size, 0
	.set _ZL15flash_attn_tileILi192ELi128ELi4ELi8ELb1EEvPKcS1_S1_S1_S1_PKiPfP15HIP_vector_typeIfLj2EEffffjfiS5_IjLj3EEiiiiiiiiiiiliiliiiiil.uses_vcc, 1
	.set _ZL15flash_attn_tileILi192ELi128ELi4ELi8ELb1EEvPKcS1_S1_S1_S1_PKiPfP15HIP_vector_typeIfLj2EEffffjfiS5_IjLj3EEiiiiiiiiiiiliiliiiiil.uses_flat_scratch, 0
	.set _ZL15flash_attn_tileILi192ELi128ELi4ELi8ELb1EEvPKcS1_S1_S1_S1_PKiPfP15HIP_vector_typeIfLj2EEffffjfiS5_IjLj3EEiiiiiiiiiiiliiliiiiil.has_dyn_sized_stack, 0
	.set _ZL15flash_attn_tileILi192ELi128ELi4ELi8ELb1EEvPKcS1_S1_S1_S1_PKiPfP15HIP_vector_typeIfLj2EEffffjfiS5_IjLj3EEiiiiiiiiiiiliiliiiiil.has_recursion, 0
	.set _ZL15flash_attn_tileILi192ELi128ELi4ELi8ELb1EEvPKcS1_S1_S1_S1_PKiPfP15HIP_vector_typeIfLj2EEffffjfiS5_IjLj3EEiiiiiiiiiiiliiliiiiil.has_indirect_call, 0
	.section	.AMDGPU.csdata,"",@progbits
; Kernel info:
; codeLenInByte = 19104
; TotalNumSgprs: 50
; NumVgprs: 78
; NumAgprs: 0
; TotalNumVgprs: 78
; ScratchSize: 0
; MemoryBound: 0
; FloatMode: 240
; IeeeMode: 1
; LDSByteSize: 18944 bytes/workgroup (compile time only)
; SGPRBlocks: 6
; VGPRBlocks: 9
; NumSGPRsForWavesPerEU: 50
; NumVGPRsForWavesPerEU: 78
; AccumOffset: 80
; Occupancy: 6
; WaveLimiterHint : 1
; COMPUTE_PGM_RSRC2:SCRATCH_EN: 0
; COMPUTE_PGM_RSRC2:USER_SGPR: 2
; COMPUTE_PGM_RSRC2:TRAP_HANDLER: 0
; COMPUTE_PGM_RSRC2:TGID_X_EN: 1
; COMPUTE_PGM_RSRC2:TGID_Y_EN: 1
; COMPUTE_PGM_RSRC2:TGID_Z_EN: 1
; COMPUTE_PGM_RSRC2:TIDIG_COMP_CNT: 1
; COMPUTE_PGM_RSRC3_GFX90A:ACCUM_OFFSET: 19
; COMPUTE_PGM_RSRC3_GFX90A:TG_SPLIT: 0
	.section	.text._ZL15flash_attn_tileILi192ELi128ELi2ELi8ELb1EEvPKcS1_S1_S1_S1_PKiPfP15HIP_vector_typeIfLj2EEffffjfiS5_IjLj3EEiiiiiiiiiiiliiliiiiil,"axG",@progbits,_ZL15flash_attn_tileILi192ELi128ELi2ELi8ELb1EEvPKcS1_S1_S1_S1_PKiPfP15HIP_vector_typeIfLj2EEffffjfiS5_IjLj3EEiiiiiiiiiiiliiliiiiil,comdat
	.globl	_ZL15flash_attn_tileILi192ELi128ELi2ELi8ELb1EEvPKcS1_S1_S1_S1_PKiPfP15HIP_vector_typeIfLj2EEffffjfiS5_IjLj3EEiiiiiiiiiiiliiliiiiil ; -- Begin function _ZL15flash_attn_tileILi192ELi128ELi2ELi8ELb1EEvPKcS1_S1_S1_S1_PKiPfP15HIP_vector_typeIfLj2EEffffjfiS5_IjLj3EEiiiiiiiiiiiliiliiiiil
	.p2align	8
	.type	_ZL15flash_attn_tileILi192ELi128ELi2ELi8ELb1EEvPKcS1_S1_S1_S1_PKiPfP15HIP_vector_typeIfLj2EEffffjfiS5_IjLj3EEiiiiiiiiiiiliiliiiiil,@function
_ZL15flash_attn_tileILi192ELi128ELi2ELi8ELb1EEvPKcS1_S1_S1_S1_PKiPfP15HIP_vector_typeIfLj2EEffffjfiS5_IjLj3EEiiiiiiiiiiiliiliiiiil: ; @_ZL15flash_attn_tileILi192ELi128ELi2ELi8ELb1EEvPKcS1_S1_S1_S1_PKiPfP15HIP_vector_typeIfLj2EEffffjfiS5_IjLj3EEiiiiiiiiiiiliiliiiiil
; %bb.0:
	s_load_dwordx4 s[20:23], s[0:1], 0x5c
	s_load_dwordx2 s[28:29], s[0:1], 0x80
	s_load_dwordx2 s[34:35], s[0:1], 0xb8
	s_mov_b64 s[30:31], 0
	s_waitcnt lgkmcnt(0)
	s_ashr_i32 s5, s23, 31
	s_lshr_b32 s5, s5, 29
	s_add_i32 s5, s23, s5
	s_ashr_i32 s5, s5, 3
	v_cvt_f32_u32_e32 v1, s5
	s_sub_i32 s6, 0, s5
	v_rcp_iflag_f32_e32 v1, v1
	s_nop 0
	v_mul_f32_e32 v1, 0x4f7ffffe, v1
	v_cvt_u32_f32_e32 v1, v1
	s_nop 0
	v_readfirstlane_b32 s7, v1
	s_mul_i32 s6, s6, s7
	s_mul_hi_u32 s6, s7, s6
	s_add_i32 s7, s7, s6
	s_mul_hi_u32 s6, s4, s7
	s_mul_i32 s7, s6, s5
	s_sub_i32 s7, s4, s7
	s_add_i32 s8, s6, 1
	s_sub_i32 s9, s7, s5
	s_cmp_ge_u32 s7, s5
	s_cselect_b32 s6, s8, s6
	s_cselect_b32 s7, s9, s7
	s_add_i32 s8, s6, 1
	s_cmp_ge_u32 s7, s5
	s_cselect_b32 s33, s8, s6
	s_abs_i32 s5, s29
	v_cvt_f32_u32_e32 v1, s5
	s_lshl_b32 s4, s4, 3
	s_mul_i32 s8, s33, s23
	s_xor_b32 s6, s23, s29
	v_rcp_iflag_f32_e32 v1, v1
	s_sub_i32 s9, 0, s5
	s_sub_i32 s29, s4, s8
	s_abs_i32 s7, s23
	v_mul_f32_e32 v1, 0x4f7ffffe, v1
	v_cvt_u32_f32_e32 v1, v1
	s_ashr_i32 s6, s6, 31
	v_readfirstlane_b32 s4, v1
	s_mul_i32 s9, s9, s4
	s_mul_hi_u32 s8, s4, s9
	s_add_i32 s4, s4, s8
	s_mul_hi_u32 s4, s7, s4
	s_mul_i32 s8, s4, s5
	s_sub_i32 s7, s7, s8
	s_add_i32 s9, s4, 1
	s_sub_i32 s8, s7, s5
	s_cmp_ge_u32 s7, s5
	s_cselect_b32 s4, s9, s4
	s_cselect_b32 s7, s8, s7
	s_add_i32 s8, s4, 1
	s_cmp_ge_u32 s7, s5
	s_cselect_b32 s4, s8, s4
	s_xor_b32 s4, s4, s6
	s_sub_i32 s37, s4, s6
	s_abs_i32 s36, s37
	v_cvt_f32_u32_e32 v1, s36
	s_load_dwordx16 s[4:19], s[0:1], 0x0
	v_rcp_iflag_f32_e32 v1, v1
	s_waitcnt lgkmcnt(0)
	s_cmp_eq_u64 s[10:11], 0
	v_mul_f32_e32 v1, 0x4f7ffffe, v1
	v_cvt_u32_f32_e32 v1, v1
	s_nop 0
	v_readfirstlane_b32 s24, v1
	s_cbranch_scc1 .LBB22_2
; %bb.1:
	s_abs_i32 s25, s34
	v_cvt_f32_u32_e32 v1, s25
	s_sub_i32 s34, 0, s25
	s_abs_i32 s31, s33
	s_ashr_i32 s30, s33, 31
	v_rcp_iflag_f32_e32 v1, v1
	s_load_dwordx2 s[26:27], s[0:1], 0xc8
	v_mul_f32_e32 v1, 0x4f7ffffe, v1
	v_cvt_u32_f32_e32 v1, v1
	s_nop 0
	v_readfirstlane_b32 s38, v1
	s_mul_i32 s34, s34, s38
	s_mul_hi_u32 s34, s38, s34
	s_add_i32 s38, s38, s34
	s_mul_hi_u32 s34, s31, s38
	s_mul_i32 s34, s34, s25
	s_sub_i32 s31, s31, s34
	s_sub_i32 s34, s31, s25
	s_cmp_ge_u32 s31, s25
	s_cselect_b32 s31, s34, s31
	s_sub_i32 s34, s31, s25
	s_cmp_ge_u32 s31, s25
	s_cselect_b32 s25, s34, s31
	s_xor_b32 s25, s25, s30
	s_sub_i32 s25, s25, s30
	s_ashr_i32 s30, s25, 31
	s_waitcnt lgkmcnt(0)
	s_mul_hi_u32 s31, s26, s25
	s_mul_i32 s30, s26, s30
	s_mul_i32 s27, s27, s25
	s_add_i32 s30, s31, s30
	s_add_i32 s27, s30, s27
	s_mul_i32 s25, s26, s25
	s_add_u32 s30, s10, s25
	s_addc_u32 s31, s11, s27
.LBB22_2:
	s_load_dwordx4 s[40:43], s[0:1], 0x70
	v_lshrrev_b32_e32 v1, 10, v0
	v_bfe_u32 v1, v1, 2, 8
	v_lshl_add_u32 v1, s2, 1, v1
	v_mul_hi_u32 v2, s20, v1
	s_waitcnt lgkmcnt(0)
	s_mul_i32 s10, s33, s42
	s_ashr_i32 s25, s10, 31
	s_mul_i32 s11, s29, s41
	s_add_u32 s4, s4, s10
	s_addc_u32 s5, s5, s25
	s_ashr_i32 s10, s11, 31
	v_add_u32_e32 v2, v1, v2
	s_add_u32 s4, s4, s11
	v_lshrrev_b32_e32 v2, s21, v2
	s_addc_u32 s5, s5, s10
	s_ashr_i32 s27, s41, 31
	s_mov_b32 s26, s41
	v_mul_lo_u32 v2, v2, s22
	s_ashr_i32 s41, s40, 31
	v_sub_u32_e32 v8, v1, v2
	s_lshr_b64 s[20:21], s[40:41], 2
	v_mad_u64_u32 v[2:3], s[20:21], s20, v8, 0
	v_mov_b32_e32 v4, v3
	s_lshr_b32 s20, s41, 2
	v_bfe_u32 v11, v0, 10, 10
	v_mad_u64_u32 v[4:5], s[20:21], s20, v8, v[4:5]
	v_lshlrev_b32_e32 v10, 1, v11
	v_and_b32_e32 v0, 0x3ff, v0
	v_mov_b32_e32 v3, v4
	s_lshr_b64 s[10:11], s[26:27], 2
	v_lshl_add_u64 v[2:3], v[2:3], 2, s[4:5]
	v_lshlrev_b32_e32 v4, 4, v0
	v_mov_b32_e32 v5, 0
	v_and_b32_e32 v14, 6, v10
	v_lshl_add_u64 v[2:3], v[2:3], 0, v[4:5]
	v_mad_u64_u32 v[4:5], s[4:5], s10, v14, 0
	v_mov_b32_e32 v6, v5
	s_lshr_b32 s4, s27, 2
	v_mad_u64_u32 v[6:7], s[4:5], s4, v14, v[6:7]
	v_mov_b32_e32 v5, v6
	v_lshl_add_u64 v[4:5], v[4:5], 2, v[2:3]
	global_load_dwordx4 v[18:21], v[4:5], off
	s_load_dword s4, s[0:1], 0x40
	s_movk_i32 s5, 0x300
	v_lshlrev_b32_e32 v16, 3, v0
	v_mad_u32_u24 v9, v11, s5, v16
	v_mul_u32_u24_e32 v17, 0x300, v11
	s_waitcnt lgkmcnt(0)
	s_mov_b32 s5, s4
	v_cmp_gt_u32_e32 vcc, 16, v0
	s_waitcnt vmcnt(0)
	v_fma_mixlo_f16 v6, s4, v18, 0
	v_fma_mixlo_f16 v7, s4, v20, 0
	v_mov_b32_e32 v18, v21
	v_and_b32_e32 v12, 0xffff, v6
	v_and_b32_e32 v13, 0xffff, v7
	v_pk_mul_f32 v[6:7], s[4:5], v[18:19] op_sel_hi:[0,1]
	v_cvt_pk_f16_f32 v6, v6, v7
	v_lshlrev_b32_e32 v7, 16, v6
	v_and_b32_e32 v6, 0xffff0000, v6
	v_or_b32_e32 v6, v6, v12
	v_or3_b32 v7, v7, v13, 0
	v_or3_b32 v6, 0, 0, v6
	ds_write_b64 v9, v[6:7]
	s_and_saveexec_b64 s[20:21], vcc
	s_cbranch_execz .LBB22_4
; %bb.3:
	global_load_dwordx4 v[4:7], v[4:5], off offset:512
	s_waitcnt vmcnt(0)
	v_fma_mixlo_f16 v9, s4, v4, 0
	v_mov_b32_e32 v4, v7
	v_pk_mul_f32 v[4:5], s[4:5], v[4:5]
	v_fma_mixlo_f16 v6, s4, v6, 0
	v_cvt_pk_f16_f32 v4, v4, v5
	v_and_b32_e32 v7, 0xffff, v9
	v_lshlrev_b32_e32 v5, 16, v4
	v_and_b32_e32 v4, 0xffff0000, v4
	v_and_b32_e32 v6, 0xffff, v6
	v_or_b32_e32 v4, v4, v7
	v_or3_b32 v5, v5, v6, 0
	v_or3_b32 v4, 0, 0, v4
	v_add_u32_e32 v6, v16, v17
	ds_write_b64 v6, v[4:5] offset:256
.LBB22_4:
	s_or_b64 exec, exec, s[20:21]
	v_bitop3_b32 v7, v10, 7, 1 bitop3:0xc8
	v_mad_u64_u32 v[4:5], s[20:21], s10, v7, 0
	v_mov_b32_e32 v6, v5
	v_mad_u64_u32 v[6:7], s[10:11], s11, v7, v[6:7]
	v_mov_b32_e32 v5, v6
	v_lshl_add_u64 v[2:3], v[4:5], 2, v[2:3]
	global_load_dwordx4 v[18:21], v[2:3], off
	v_or_b32_e32 v4, 1, v10
	s_movk_i32 s10, 0x180
	v_mad_u32_u24 v5, v4, s10, v16
	s_waitcnt vmcnt(0)
	v_fma_mixlo_f16 v6, s4, v18, 0
	v_fma_mixlo_f16 v7, s4, v20, 0
	v_mov_b32_e32 v18, v21
	v_and_b32_e32 v9, 0xffff, v6
	v_and_b32_e32 v12, 0xffff, v7
	v_pk_mul_f32 v[6:7], s[4:5], v[18:19]
	s_nop 0
	v_cvt_pk_f16_f32 v6, v6, v7
	v_lshlrev_b32_e32 v7, 16, v6
	v_and_b32_e32 v6, 0xffff0000, v6
	v_or_b32_e32 v6, v6, v9
	v_or3_b32 v7, v7, v12, 0
	v_or3_b32 v6, 0, 0, v6
	ds_write_b64 v5, v[6:7]
	s_and_saveexec_b64 s[10:11], vcc
	s_cbranch_execz .LBB22_6
; %bb.5:
	global_load_dwordx4 v[18:21], v[2:3], off offset:512
	v_mul_u32_u24_e32 v4, 0x180, v4
	v_add_u32_e32 v4, v16, v4
	s_waitcnt vmcnt(0)
	v_fma_mixlo_f16 v2, s4, v18, 0
	v_fma_mixlo_f16 v3, s4, v20, 0
	v_mov_b32_e32 v18, v21
	v_and_b32_e32 v5, 0xffff, v2
	v_and_b32_e32 v6, 0xffff, v3
	v_pk_mul_f32 v[2:3], s[4:5], v[18:19]
	s_nop 0
	v_cvt_pk_f16_f32 v2, v2, v3
	v_lshlrev_b32_e32 v3, 16, v2
	v_and_b32_e32 v2, 0xffff0000, v2
	v_or_b32_e32 v2, v2, v5
	v_or3_b32 v3, v3, v6, 0
	v_or3_b32 v2, 0, 0, v2
	ds_write_b64 v4, v[2:3] offset:256
.LBB22_6:
	s_or_b64 exec, exec, s[10:11]
	s_cmp_eq_u64 s[14:15], 0
	s_waitcnt lgkmcnt(0)
	s_barrier
	s_cbranch_scc1 .LBB22_8
; %bb.7:
	s_load_dword s4, s[0:1], 0xd0
	s_mov_b32 s5, 0
	s_waitcnt lgkmcnt(0)
	s_mul_i32 s4, s4, s33
	s_add_i32 s4, s4, s2
	s_lshl_b64 s[4:5], s[4:5], 2
	s_add_u32 s4, s14, s4
	s_addc_u32 s5, s15, s5
	s_load_dword s28, s[4:5], 0x0
.LBB22_8:
	s_lshl_b32 s2, s3, 5
	s_waitcnt lgkmcnt(0)
	s_cmp_lt_i32 s2, s28
	v_mbcnt_lo_u32_b32 v4, -1, 0
	s_cbranch_scc1 .LBB22_23
; %bb.9:
	v_mbcnt_hi_u32_b32 v2, -1, v4
	v_and_b32_e32 v3, 0x60, v2
	v_add_u32_e32 v30, 32, v3
	v_xor_b32_e32 v31, 16, v2
	v_xor_b32_e32 v29, 8, v2
	;; [unrolled: 1-line block ×5, first 2 shown]
	v_lshlrev_b32_e32 v15, 2, v0
	s_cbranch_execz .LBB22_24
; %bb.10:
	v_mov_b32_e32 v5, 0
	v_mov_b32_e32 v13, 0xfeffffff
	;; [unrolled: 1-line block ×8, first 2 shown]
.LBB22_11:
	v_cmp_lt_i32_e32 vcc, v31, v30
	s_cmp_lg_u64 s[12:13], 0
	s_cselect_b64 s[4:5], -1, 0
	v_cndmask_b32_e32 v6, v2, v31, vcc
	v_lshlrev_b32_e32 v7, 2, v6
	ds_bpermute_b32 v6, v7, v4
	ds_bpermute_b32 v7, v7, v5
	v_cmp_lt_i32_e32 vcc, v29, v30
	s_cmp_eq_u32 s3, 0
	s_cselect_b64 s[6:7], -1, 0
	v_cndmask_b32_e32 v8, v2, v29, vcc
	v_lshlrev_b32_e32 v8, 2, v8
	s_waitcnt lgkmcnt(0)
	v_pk_add_f32 v[4:5], v[4:5], v[6:7]
	ds_bpermute_b32 v6, v8, v4
	ds_bpermute_b32 v7, v8, v5
	v_cmp_lt_i32_e32 vcc, v32, v30
	s_and_b64 s[4:5], s[6:7], s[4:5]
	s_waitcnt lgkmcnt(0)
	v_pk_add_f32 v[4:5], v[4:5], v[6:7]
	v_cndmask_b32_e32 v8, v2, v32, vcc
	v_lshlrev_b32_e32 v8, 2, v8
	ds_bpermute_b32 v6, v8, v4
	ds_bpermute_b32 v7, v8, v5
	v_cmp_lt_i32_e32 vcc, v33, v30
	s_waitcnt lgkmcnt(0)
	v_pk_add_f32 v[4:5], v[4:5], v[6:7]
	v_cndmask_b32_e32 v8, v2, v33, vcc
	v_lshlrev_b32_e32 v8, 2, v8
	ds_bpermute_b32 v6, v8, v4
	ds_bpermute_b32 v7, v8, v5
	v_cmp_lt_i32_e32 vcc, v34, v30
	s_waitcnt lgkmcnt(0)
	v_pk_add_f32 v[4:5], v[4:5], v[6:7]
	v_cndmask_b32_e32 v2, v2, v34, vcc
	v_lshlrev_b32_e32 v2, 2, v2
	ds_bpermute_b32 v6, v2, v4
	ds_bpermute_b32 v7, v2, v5
	s_and_b64 vcc, exec, s[4:5]
	s_waitcnt lgkmcnt(0)
	v_pk_add_f32 v[4:5], v[4:5], v[6:7]
	s_cbranch_vccz .LBB22_13
; %bb.12:
	v_add_u32_e32 v6, s29, v14
	v_ashrrev_i32_e32 v7, 31, v6
	v_lshl_add_u64 v[6:7], v[6:7], 2, s[12:13]
	global_load_dwordx2 v[6:7], v[6:7], off
	v_max_f32_e32 v2, v12, v12
	v_max_f32_e32 v11, v13, v13
	s_mov_b32 s2, 0x3fb8aa3b
	s_mov_b32 s4, 0xc2ce8ed0
	;; [unrolled: 1-line block ×3, first 2 shown]
	v_mov_b32_e32 v8, 0x7f800000
	s_waitcnt vmcnt(0)
	v_max_f32_e32 v10, v6, v6
	v_max_f32_e32 v10, v2, v10
	v_max_f32_e32 v16, v7, v7
	v_sub_f32_e32 v2, v12, v10
	v_max_f32_e32 v11, v11, v16
	v_sub_f32_e32 v12, v6, v10
	v_mul_f32_e32 v6, 0x3fb8aa3b, v2
	v_sub_f32_e32 v13, v13, v11
	v_sub_f32_e32 v16, v7, v11
	v_mul_f32_e32 v7, 0x3fb8aa3b, v12
	v_fma_f32 v19, v2, s2, -v6
	v_rndne_f32_e32 v20, v6
	v_mul_f32_e32 v17, 0x3fb8aa3b, v13
	v_fma_f32 v21, v12, s2, -v7
	v_rndne_f32_e32 v22, v7
	v_fmac_f32_e32 v19, 0x32a5705f, v2
	v_sub_f32_e32 v6, v6, v20
	v_mul_f32_e32 v18, 0x3fb8aa3b, v16
	v_fma_f32 v23, v13, s2, -v17
	v_rndne_f32_e32 v26, v17
	v_fmac_f32_e32 v21, 0x32a5705f, v12
	v_sub_f32_e32 v7, v7, v22
	v_add_f32_e32 v6, v6, v19
	v_fma_f32 v27, v16, s2, -v18
	v_rndne_f32_e32 v28, v18
	v_cvt_i32_f32_e32 v20, v20
	v_fmac_f32_e32 v23, 0x32a5705f, v13
	v_sub_f32_e32 v17, v17, v26
	v_add_f32_e32 v7, v7, v21
	v_exp_f32_e32 v6, v6
	v_cvt_i32_f32_e32 v22, v22
	v_fmac_f32_e32 v27, 0x32a5705f, v16
	v_sub_f32_e32 v18, v18, v28
	v_add_f32_e32 v17, v17, v23
	v_exp_f32_e32 v7, v7
	v_cvt_i32_f32_e32 v26, v26
	v_add_f32_e32 v18, v18, v27
	v_exp_f32_e32 v17, v17
	v_cvt_i32_f32_e32 v28, v28
	v_exp_f32_e32 v18, v18
	v_ldexp_f32 v6, v6, v20
	v_cmp_ngt_f32_e32 vcc, s4, v2
	v_ldexp_f32 v7, v7, v22
	v_ldexp_f32 v17, v17, v26
	v_cndmask_b32_e32 v6, 0, v6, vcc
	v_cmp_ngt_f32_e32 vcc, s4, v12
	v_ldexp_f32 v18, v18, v28
	s_nop 0
	v_cndmask_b32_e32 v7, 0, v7, vcc
	v_cmp_ngt_f32_e32 vcc, s4, v13
	s_nop 1
	v_cndmask_b32_e32 v17, 0, v17, vcc
	v_cmp_ngt_f32_e32 vcc, s4, v16
	s_nop 1
	v_cndmask_b32_e32 v18, 0, v18, vcc
	v_cmp_nlt_f32_e32 vcc, s5, v2
	s_nop 1
	v_cndmask_b32_e32 v6, v8, v6, vcc
	v_cmp_nlt_f32_e32 vcc, s5, v12
	v_cvt_f16_f32_e32 v2, v6
	v_mul_u32_u24_e32 v2, 0x10001, v2
	v_cndmask_b32_e32 v12, v8, v7, vcc
	v_cmp_nlt_f32_e32 vcc, s5, v13
	v_pk_mul_f16 v24, v24, v2
	v_pk_mul_f16 v25, v25, v2
	v_cndmask_b32_e32 v7, v8, v17, vcc
	v_cvt_f16_f32_e32 v17, v7
	v_cmp_nlt_f32_e32 vcc, s5, v16
	s_nop 1
	v_cndmask_b32_e32 v13, v8, v18, vcc
	v_pk_fma_f32 v[4:5], v[4:5], v[6:7], v[12:13]
	v_mul_u32_u24_e32 v6, 0x10001, v17
	v_pk_mul_f16 v9, v9, v6
	v_pk_mul_f16 v3, v3, v6
	v_mov_b64_e32 v[12:13], v[10:11]
.LBB22_13:
	v_cmp_gt_i32_e32 vcc, s22, v1
	s_and_saveexec_b64 s[4:5], vcc
	s_cbranch_execz .LBB22_22
; %bb.14:
	s_load_dword s6, s[0:1], 0xd4
	v_mov_b32_e32 v2, 1.0
	s_waitcnt lgkmcnt(0)
	s_cmp_lg_u32 s6, 1
	s_cselect_b64 s[0:1], -1, 0
	s_cmp_eq_u32 s6, 1
	s_cselect_b64 s[4:5], -1, 0
	s_and_b64 vcc, exec, s[0:1]
	s_cbranch_vccnz .LBB22_16
; %bb.15:
	v_div_scale_f32 v2, s[8:9], v4, v4, 1.0
	v_rcp_f32_e32 v6, v2
	v_div_scale_f32 v7, vcc, 1.0, v4, 1.0
	v_fma_f32 v8, -v2, v6, 1.0
	v_fmac_f32_e32 v6, v8, v6
	v_mul_f32_e32 v8, v7, v6
	v_fma_f32 v10, -v2, v8, v7
	v_fmac_f32_e32 v8, v10, v6
	v_fma_f32 v2, -v2, v8, v7
	v_div_fmas_f32 v2, v2, v6, v8
	v_div_fixup_f32 v2, v2, v4, 1.0
.LBB22_16:
	s_mul_i32 s33, s33, s22
	v_add_u32_e32 v1, s33, v1
	v_mul_lo_u32 v1, v1, s23
	v_add3_u32 v1, s29, v14, v1
	v_cvt_f32_f16_sdwa v11, v24 dst_sel:DWORD dst_unused:UNUSED_PAD src0_sel:WORD_1
	v_cvt_f32_f16_e32 v10, v24
	v_cvt_f32_f16_sdwa v19, v25 dst_sel:DWORD dst_unused:UNUSED_PAD src0_sel:WORD_1
	v_cvt_f32_f16_e32 v18, v25
	v_cmp_eq_u32_e32 vcc, 0, v0
	v_mul_lo_u32 v0, s6, v1
	v_add_u32_e32 v0, s3, v0
	v_lshl_add_u32 v6, v0, 7, v15
	v_mov_b32_e32 v7, 0
	s_and_b64 s[0:1], vcc, s[0:1]
	v_lshl_add_u64 v[6:7], v[6:7], 2, s[16:17]
	v_pk_mul_f32 v[16:17], v[2:3], v[10:11] op_sel_hi:[0,1]
	v_pk_mul_f32 v[18:19], v[2:3], v[18:19] op_sel_hi:[0,1]
	global_store_dwordx4 v[6:7], v[16:19], off
	s_and_saveexec_b64 s[2:3], s[0:1]
	s_cbranch_execz .LBB22_18
; %bb.17:
	v_ashrrev_i32_e32 v1, 31, v0
	v_lshl_add_u64 v[6:7], v[0:1], 3, s[18:19]
	v_mov_b32_e32 v10, v12
	v_mov_b32_e32 v11, v4
	global_store_dwordx2 v[6:7], v[10:11], off
.LBB22_18:
	s_or_b64 exec, exec, s[2:3]
	s_andn2_b64 vcc, exec, s[4:5]
	v_mov_b32_e32 v2, 1.0
	s_cbranch_vccnz .LBB22_20
; %bb.19:
	v_div_scale_f32 v1, s[2:3], v5, v5, 1.0
	v_rcp_f32_e32 v2, v1
	v_div_scale_f32 v4, vcc, 1.0, v5, 1.0
	v_fma_f32 v6, -v1, v2, 1.0
	v_fmac_f32_e32 v2, v6, v2
	v_mul_f32_e32 v6, v4, v2
	v_fma_f32 v7, -v1, v6, v4
	v_fmac_f32_e32 v6, v7, v2
	v_fma_f32 v1, -v1, v6, v4
	v_div_fmas_f32 v1, v1, v2, v6
	v_div_fixup_f32 v2, v1, v5, 1.0
.LBB22_20:
	v_cvt_f32_f16_sdwa v11, v9 dst_sel:DWORD dst_unused:UNUSED_PAD src0_sel:WORD_1
	v_cvt_f32_f16_e32 v10, v9
	v_cvt_f32_f16_sdwa v9, v3 dst_sel:DWORD dst_unused:UNUSED_PAD src0_sel:WORD_1
	v_cvt_f32_f16_e32 v8, v3
	v_add_u32_e32 v0, s6, v0
	v_lshl_add_u32 v6, v0, 7, v15
	v_mov_b32_e32 v7, 0
	v_lshl_add_u64 v[14:15], v[6:7], 2, s[16:17]
	v_pk_mul_f32 v[6:7], v[2:3], v[10:11] op_sel_hi:[0,1]
	v_pk_mul_f32 v[8:9], v[2:3], v[8:9] op_sel_hi:[0,1]
	global_store_dwordx4 v[14:15], v[6:9], off
	s_and_b64 exec, exec, s[0:1]
	s_cbranch_execz .LBB22_22
; %bb.21:
	v_ashrrev_i32_e32 v1, 31, v0
	v_lshl_add_u64 v[0:1], v[0:1], 3, s[18:19]
	v_mov_b32_e32 v4, v13
	global_store_dwordx2 v[0:1], v[4:5], off
.LBB22_22:
	s_endpgm
.LBB22_23:
                                        ; implicit-def: $vgpr2
                                        ; implicit-def: $vgpr30
                                        ; implicit-def: $vgpr31
                                        ; implicit-def: $vgpr29
                                        ; implicit-def: $vgpr32
                                        ; implicit-def: $vgpr33
                                        ; implicit-def: $vgpr34
	v_lshlrev_b32_e32 v15, 2, v0
.LBB22_24:
	s_sub_i32 s4, 0, s36
	s_mul_i32 s4, s4, s24
	s_mul_hi_u32 s4, s24, s4
	s_abs_i32 s15, s29
	s_add_i32 s24, s24, s4
	s_mul_hi_u32 s34, s15, s24
	s_load_dwordx4 s[24:27], s[0:1], 0x98
	s_load_dword s10, s[0:1], 0x54
	s_load_dwordx2 s[4:5], s[0:1], 0x8c
	s_ashr_i32 s38, s29, 31
	s_ashr_i32 s37, s37, 31
	s_waitcnt lgkmcnt(0)
	s_ashr_i32 s11, s26, 2
	s_ashr_i32 s26, s35, 1
	;; [unrolled: 1-line block ×4, first 2 shown]
	s_mul_hi_u32 s4, s24, s33
	s_mul_i32 s39, s24, s35
	s_add_i32 s4, s4, s39
	s_mul_i32 s25, s25, s33
	s_add_i32 s4, s4, s25
	s_mul_i32 s24, s24, s33
	s_add_u32 s6, s6, s24
	s_mul_i32 s24, s34, s36
	s_addc_u32 s7, s7, s4
	s_sub_i32 s15, s15, s24
	s_xor_b32 s4, s38, s37
	s_add_i32 s24, s34, 1
	s_sub_i32 s25, s15, s36
	s_cmp_ge_u32 s15, s36
	s_cselect_b32 s24, s24, s34
	s_cselect_b32 s15, s25, s15
	s_add_i32 s25, s24, 1
	s_cmp_ge_u32 s15, s36
	s_cselect_b32 s15, s25, s24
	s_load_dwordx2 s[20:21], s[0:1], 0xa8
	s_xor_b32 s15, s15, s4
	s_sub_i32 s15, s15, s4
	s_mul_i32 s4, s15, s5
	s_ashr_i32 s5, s4, 31
	s_add_u32 s4, s6, s4
	s_addc_u32 s5, s7, s5
	s_waitcnt lgkmcnt(0)
	s_mul_hi_u32 s6, s20, s33
	s_mul_i32 s7, s20, s35
	s_add_i32 s6, s6, s7
	s_mul_i32 s7, s21, s33
	s_add_i32 s6, s6, s7
	s_mul_i32 s7, s20, s33
	v_lshrrev_b32_e32 v2, 3, v0
	s_add_u32 s7, s8, s7
	s_mul_i32 s15, s15, s27
	v_lshl_add_u32 v3, v11, 2, v2
	s_addc_u32 s8, s9, s6
	s_ashr_i32 s9, s15, 31
	v_mul_lo_u32 v6, s14, v3
	s_add_u32 s6, s7, s15
	v_and_b32_e32 v2, 28, v15
	v_ashrrev_i32_e32 v7, 31, v6
	s_addc_u32 s7, s8, s9
	v_mul_u32_u24_e32 v5, 0x90, v3
	v_lshlrev_b32_e32 v2, 2, v2
	s_movk_i32 s9, 0x1800
	v_lshl_add_u64 v[6:7], v[6:7], 2, s[4:5]
	v_mov_b32_e32 v3, 0
	s_movk_i32 s8, 0x90
	v_add3_u32 v18, v5, v2, s9
	v_lshl_add_u64 v[6:7], v[6:7], 0, v[2:3]
	v_mov_b32_e32 v2, 0x1800
	v_mad_u32_u24 v19, v0, s8, v2
	v_mov_b32_e32 v2, 0x2a00
	v_lshl_add_u32 v20, v11, 7, v2
	v_lshrrev_b32_e32 v2, 4, v0
	v_add_u32_e32 v5, v2, v10
	v_mul_lo_u32 v10, s11, v5
	v_and_b32_e32 v2, 60, v15
	v_ashrrev_i32_e32 v11, 31, v10
	v_mad_u64_u32 v[8:9], s[4:5], v8, s26, v[0:1]
	v_lshlrev_b32_e32 v2, 2, v2
	v_lshl_add_u64 v[10:11], v[10:11], 2, s[6:7]
	v_lshl_or_b32 v9, v5, 8, v2
	v_lshl_add_u64 v[10:11], v[10:11], 0, v[2:3]
	s_add_u32 s4, s0, 0xd0
                                        ; implicit-def: $vgpr2
                                        ; implicit-def: $vgpr2
	;; [unrolled: 1-line block ×3, first 2 shown]
	v_add_u32_e32 v21, 0x1800, v9
	s_addc_u32 s5, s1, 0
	v_mov_b32_e32 v27, 0xfeffffff
	s_mov_b32 s8, 0x3f200000
	s_mov_b32 s9, 0x3fb8aa3b
	;; [unrolled: 1-line block ×4, first 2 shown]
	v_mov_b32_e32 v22, 0x3ca908c9
	s_brev_b32 s21, -2
	s_mov_b32 s24, 0x10001
	v_mov_b32_e32 v23, 0x7f800000
	v_mbcnt_hi_u32_b32 v2, -1, v4
	v_mov_b32_e32 v9, v3
	v_mov_b32_e32 v25, v3
	;; [unrolled: 1-line block ×6, first 2 shown]
.LBB22_25:                              ; =>This Inner Loop Header: Depth=1
	s_mul_hi_i32 s7, s2, s14
	s_mul_i32 s6, s2, s14
	v_lshl_add_u64 v[12:13], s[6:7], 2, v[6:7]
	global_load_dwordx4 v[28:31], v[12:13], off
	s_waitcnt vmcnt(0)
	ds_write_b128 v18, v[28:31]
	s_waitcnt lgkmcnt(0)
	s_barrier
	ds_read_b128 v[30:33], v19
	ds_read_b128 v[34:37], v17
	v_mov_b32_e32 v29, 0
	ds_read_b128 v[38:41], v17 offset:384
	s_waitcnt lgkmcnt(1)
	;;#ASMSTART
	v_dot2_f32_f16 v29, v30, v34, v29
	;;#ASMEND
	s_nop 0
	;;#ASMSTART
	v_dot2_f32_f16 v29, v31, v35, v29
	;;#ASMEND
	v_mov_b32_e32 v28, 0
	;;#ASMSTART
	v_dot2_f32_f16 v29, v32, v36, v29
	;;#ASMEND
	s_nop 0
	;;#ASMSTART
	v_dot2_f32_f16 v29, v33, v37, v29
	;;#ASMEND
	s_waitcnt lgkmcnt(0)
	;;#ASMSTART
	v_dot2_f32_f16 v28, v30, v38, v28
	;;#ASMEND
	s_nop 0
	;;#ASMSTART
	v_dot2_f32_f16 v28, v31, v39, v28
	;;#ASMEND
	s_nop 0
	;;#ASMSTART
	v_dot2_f32_f16 v28, v32, v40, v28
	;;#ASMEND
	s_nop 0
	;;#ASMSTART
	v_dot2_f32_f16 v28, v33, v41, v28
	;;#ASMEND
	ds_read_b128 v[30:33], v19 offset:16
	ds_read_b128 v[34:37], v17 offset:16
	ds_read_b128 v[38:41], v17 offset:400
	s_waitcnt lgkmcnt(1)
	;;#ASMSTART
	v_dot2_f32_f16 v29, v30, v34, v29
	;;#ASMEND
	s_nop 0
	;;#ASMSTART
	v_dot2_f32_f16 v29, v31, v35, v29
	;;#ASMEND
	s_nop 0
	;;#ASMSTART
	v_dot2_f32_f16 v29, v32, v36, v29
	;;#ASMEND
	s_nop 0
	;;#ASMSTART
	v_dot2_f32_f16 v29, v33, v37, v29
	;;#ASMEND
	s_waitcnt lgkmcnt(0)
	;;#ASMSTART
	v_dot2_f32_f16 v28, v30, v38, v28
	;;#ASMEND
	s_nop 0
	;;#ASMSTART
	v_dot2_f32_f16 v28, v31, v39, v28
	;;#ASMEND
	s_nop 0
	;;#ASMSTART
	v_dot2_f32_f16 v28, v32, v40, v28
	;;#ASMEND
	s_nop 0
	;;#ASMSTART
	v_dot2_f32_f16 v28, v33, v41, v28
	;;#ASMEND
	ds_read_b128 v[30:33], v19 offset:32
	ds_read_b128 v[34:37], v17 offset:32
	ds_read_b128 v[38:41], v17 offset:416
	s_waitcnt lgkmcnt(1)
	;;#ASMSTART
	v_dot2_f32_f16 v29, v30, v34, v29
	;;#ASMEND
	s_nop 0
	;;#ASMSTART
	v_dot2_f32_f16 v29, v31, v35, v29
	;;#ASMEND
	s_nop 0
	;; [unrolled: 35-line block ×7, first 2 shown]
	;;#ASMSTART
	v_dot2_f32_f16 v29, v32, v36, v29
	;;#ASMEND
	s_nop 0
	;;#ASMSTART
	v_dot2_f32_f16 v29, v33, v37, v29
	;;#ASMEND
	s_waitcnt lgkmcnt(0)
	;;#ASMSTART
	v_dot2_f32_f16 v28, v30, v38, v28
	;;#ASMEND
	s_nop 0
	;;#ASMSTART
	v_dot2_f32_f16 v28, v31, v39, v28
	;;#ASMEND
	s_nop 0
	;; [unrolled: 4-line block ×3, first 2 shown]
	;;#ASMSTART
	v_dot2_f32_f16 v28, v33, v41, v28
	;;#ASMEND
	s_barrier
	global_load_dwordx4 v[30:33], v[12:13], off offset:128
	s_waitcnt vmcnt(0)
	ds_write_b128 v18, v[30:33]
	s_waitcnt lgkmcnt(0)
	s_barrier
	ds_read_b128 v[30:33], v19
	ds_read_b128 v[34:37], v17 offset:128
	ds_read_b128 v[38:41], v17 offset:512
	s_waitcnt lgkmcnt(1)
	;;#ASMSTART
	v_dot2_f32_f16 v29, v30, v34, v29
	;;#ASMEND
	s_nop 0
	;;#ASMSTART
	v_dot2_f32_f16 v29, v31, v35, v29
	;;#ASMEND
	s_nop 0
	;;#ASMSTART
	v_dot2_f32_f16 v29, v32, v36, v29
	;;#ASMEND
	s_nop 0
	;;#ASMSTART
	v_dot2_f32_f16 v29, v33, v37, v29
	;;#ASMEND
	s_waitcnt lgkmcnt(0)
	;;#ASMSTART
	v_dot2_f32_f16 v28, v30, v38, v28
	;;#ASMEND
	s_nop 0
	;;#ASMSTART
	v_dot2_f32_f16 v28, v31, v39, v28
	;;#ASMEND
	s_nop 0
	;;#ASMSTART
	v_dot2_f32_f16 v28, v32, v40, v28
	;;#ASMEND
	s_nop 0
	;;#ASMSTART
	v_dot2_f32_f16 v28, v33, v41, v28
	;;#ASMEND
	ds_read_b128 v[30:33], v19 offset:16
	ds_read_b128 v[34:37], v17 offset:144
	ds_read_b128 v[38:41], v17 offset:528
	s_waitcnt lgkmcnt(1)
	;;#ASMSTART
	v_dot2_f32_f16 v29, v30, v34, v29
	;;#ASMEND
	s_nop 0
	;;#ASMSTART
	v_dot2_f32_f16 v29, v31, v35, v29
	;;#ASMEND
	s_nop 0
	;;#ASMSTART
	v_dot2_f32_f16 v29, v32, v36, v29
	;;#ASMEND
	s_nop 0
	;;#ASMSTART
	v_dot2_f32_f16 v29, v33, v37, v29
	;;#ASMEND
	s_waitcnt lgkmcnt(0)
	;;#ASMSTART
	v_dot2_f32_f16 v28, v30, v38, v28
	;;#ASMEND
	s_nop 0
	;;#ASMSTART
	v_dot2_f32_f16 v28, v31, v39, v28
	;;#ASMEND
	s_nop 0
	;;#ASMSTART
	v_dot2_f32_f16 v28, v32, v40, v28
	;;#ASMEND
	s_nop 0
	;;#ASMSTART
	v_dot2_f32_f16 v28, v33, v41, v28
	;;#ASMEND
	ds_read_b128 v[30:33], v19 offset:32
	;; [unrolled: 35-line block ×7, first 2 shown]
	ds_read_b128 v[34:37], v17 offset:240
	ds_read_b128 v[38:41], v17 offset:624
	s_waitcnt lgkmcnt(1)
	;;#ASMSTART
	v_dot2_f32_f16 v29, v30, v34, v29
	;;#ASMEND
	s_nop 0
	;;#ASMSTART
	v_dot2_f32_f16 v29, v31, v35, v29
	;;#ASMEND
	s_nop 0
	;; [unrolled: 4-line block ×3, first 2 shown]
	;;#ASMSTART
	v_dot2_f32_f16 v29, v33, v37, v29
	;;#ASMEND
	s_waitcnt lgkmcnt(0)
	;;#ASMSTART
	v_dot2_f32_f16 v28, v30, v38, v28
	;;#ASMEND
	s_nop 0
	;;#ASMSTART
	v_dot2_f32_f16 v28, v31, v39, v28
	;;#ASMEND
	s_nop 0
	;;#ASMSTART
	v_dot2_f32_f16 v28, v32, v40, v28
	;;#ASMEND
	s_nop 0
	;;#ASMSTART
	v_dot2_f32_f16 v28, v33, v41, v28
	;;#ASMEND
	s_barrier
	global_load_dwordx4 v[30:33], v[12:13], off offset:256
	v_add_u32_e32 v12, s2, v8
	v_ashrrev_i32_e32 v13, 31, v12
	v_lshl_add_u64 v[12:13], v[12:13], 1, s[30:31]
	s_waitcnt vmcnt(0)
	ds_write_b128 v18, v[30:33]
	s_waitcnt lgkmcnt(0)
	s_barrier
	ds_read_b128 v[30:33], v19
	ds_read_b128 v[34:37], v17 offset:256
	ds_read_b128 v[38:41], v17 offset:640
	s_waitcnt lgkmcnt(1)
	;;#ASMSTART
	v_dot2_f32_f16 v29, v30, v34, v29
	;;#ASMEND
	s_nop 0
	;;#ASMSTART
	v_dot2_f32_f16 v29, v31, v35, v29
	;;#ASMEND
	s_nop 0
	;;#ASMSTART
	v_dot2_f32_f16 v29, v32, v36, v29
	;;#ASMEND
	s_nop 0
	;;#ASMSTART
	v_dot2_f32_f16 v29, v33, v37, v29
	;;#ASMEND
	s_waitcnt lgkmcnt(0)
	;;#ASMSTART
	v_dot2_f32_f16 v28, v30, v38, v28
	;;#ASMEND
	s_nop 0
	;;#ASMSTART
	v_dot2_f32_f16 v28, v31, v39, v28
	;;#ASMEND
	s_nop 0
	;;#ASMSTART
	v_dot2_f32_f16 v28, v32, v40, v28
	;;#ASMEND
	s_nop 0
	;;#ASMSTART
	v_dot2_f32_f16 v28, v33, v41, v28
	;;#ASMEND
	ds_read_b128 v[30:33], v19 offset:16
	ds_read_b128 v[34:37], v17 offset:272
	ds_read_b128 v[38:41], v17 offset:656
	s_waitcnt lgkmcnt(1)
	;;#ASMSTART
	v_dot2_f32_f16 v29, v30, v34, v29
	;;#ASMEND
	s_nop 0
	;;#ASMSTART
	v_dot2_f32_f16 v29, v31, v35, v29
	;;#ASMEND
	s_nop 0
	;;#ASMSTART
	v_dot2_f32_f16 v29, v32, v36, v29
	;;#ASMEND
	s_nop 0
	;;#ASMSTART
	v_dot2_f32_f16 v29, v33, v37, v29
	;;#ASMEND
	s_waitcnt lgkmcnt(0)
	;;#ASMSTART
	v_dot2_f32_f16 v28, v30, v38, v28
	;;#ASMEND
	s_nop 0
	;;#ASMSTART
	v_dot2_f32_f16 v28, v31, v39, v28
	;;#ASMEND
	s_nop 0
	;;#ASMSTART
	v_dot2_f32_f16 v28, v32, v40, v28
	;;#ASMEND
	s_nop 0
	;;#ASMSTART
	v_dot2_f32_f16 v28, v33, v41, v28
	;;#ASMEND
	ds_read_b128 v[30:33], v19 offset:32
	;; [unrolled: 35-line block ×7, first 2 shown]
	ds_read_b128 v[34:37], v17 offset:368
	ds_read_b128 v[38:41], v17 offset:752
	s_waitcnt lgkmcnt(1)
	;;#ASMSTART
	v_dot2_f32_f16 v29, v30, v34, v29
	;;#ASMEND
	s_nop 0
	;;#ASMSTART
	v_dot2_f32_f16 v29, v31, v35, v29
	;;#ASMEND
	s_nop 0
	;; [unrolled: 4-line block ×3, first 2 shown]
	;;#ASMSTART
	v_dot2_f32_f16 v29, v33, v37, v29
	;;#ASMEND
	s_waitcnt lgkmcnt(0)
	;;#ASMSTART
	v_dot2_f32_f16 v28, v30, v38, v28
	;;#ASMEND
	s_nop 0
	;;#ASMSTART
	v_dot2_f32_f16 v28, v31, v39, v28
	;;#ASMEND
	v_cmp_nlt_f32_e64 s[6:7], |v29|, s8
	;;#ASMSTART
	v_dot2_f32_f16 v28, v32, v40, v28
	;;#ASMEND
	s_nop 0
	;;#ASMSTART
	v_dot2_f32_f16 v28, v33, v41, v28
	;;#ASMEND
	global_load_ushort v37, v[12:13], off
                                        ; implicit-def: $vgpr12
	s_and_saveexec_b64 s[26:27], s[6:7]
	s_xor_b64 s[6:7], exec, s[26:27]
	s_cbranch_execz .LBB22_27
; %bb.26:                               ;   in Loop: Header=BB22_25 Depth=1
	v_add_f32_e64 v12, |v29|, |v29|
	v_mul_f32_e32 v13, 0x3fb8aa3b, v12
	v_rndne_f32_e32 v30, v13
	v_sub_f32_e32 v31, v13, v30
	v_fma_f32 v13, v12, s9, -v13
	v_fmac_f32_e32 v13, 0x32a5705f, v12
	v_add_f32_e32 v13, v31, v13
	v_cvt_i32_f32_e32 v30, v30
	v_exp_f32_e32 v13, v13
	v_cmp_ngt_f32_e32 vcc, s15, v12
	v_ldexp_f32 v13, v13, v30
	s_nop 0
	v_cndmask_b32_e32 v13, 0, v13, vcc
	v_cmp_nlt_f32_e32 vcc, s20, v12
	s_nop 1
	v_cndmask_b32_e32 v12, v23, v13, vcc
	v_add_f32_e32 v12, 1.0, v12
	v_rcp_f32_e32 v12, v12
	s_nop 0
	v_fma_f32 v12, v12, -2.0, 1.0
.LBB22_27:                              ;   in Loop: Header=BB22_25 Depth=1
	s_andn2_saveexec_b64 s[6:7], s[6:7]
; %bb.28:                               ;   in Loop: Header=BB22_25 Depth=1
	v_mul_f32_e32 v12, v29, v29
	v_fmamk_f32 v13, v12, 0xbbbac73d, v22
	v_fmaak_f32 v13, v12, v13, 0xbd5c1c4e
	v_fmaak_f32 v13, v12, v13, 0x3e088382
	;; [unrolled: 1-line block ×3, first 2 shown]
	v_mul_f32_e64 v13, |v29|, v13
	v_fma_f32 v12, v12, v13, |v29|
; %bb.29:                               ;   in Loop: Header=BB22_25 Depth=1
	s_or_b64 exec, exec, s[6:7]
	v_and_b32_e32 v13, 0x60, v2
	v_add_u32_e32 v30, 32, v13
	v_xor_b32_e32 v31, 16, v2
	v_cmp_lt_i32_e32 vcc, v31, v30
	v_bfi_b32 v12, s21, v12, v29
	v_max_f32_e32 v29, v27, v27
	v_cndmask_b32_e32 v13, v2, v31, vcc
	v_lshlrev_b32_e32 v38, 2, v13
	s_waitcnt vmcnt(0)
	v_fma_mix_f32 v13, s10, v12, v37 op_sel_hi:[0,0,1]
	v_add_f32_e32 v12, 0x40051340, v13
	v_max_f32_e32 v12, v29, v12
	ds_bpermute_b32 v32, v38, v12
	v_xor_b32_e32 v29, 8, v2
	v_cmp_lt_i32_e32 vcc, v29, v30
	v_cmp_nlt_f32_e64 s[6:7], |v28|, s8
                                        ; implicit-def: $vgpr42
	s_waitcnt lgkmcnt(0)
	v_max_f32_e32 v32, v32, v32
	v_cndmask_b32_e32 v33, v2, v29, vcc
	v_lshlrev_b32_e32 v39, 2, v33
	v_max_f32_e32 v33, v12, v32
	ds_bpermute_b32 v34, v39, v33
	v_xor_b32_e32 v32, 4, v2
	v_cmp_lt_i32_e32 vcc, v32, v30
	s_waitcnt lgkmcnt(0)
	v_max_f32_e32 v34, v34, v34
	v_cndmask_b32_e32 v12, v2, v32, vcc
	v_lshlrev_b32_e32 v12, 2, v12
	v_max_f32_e32 v34, v33, v34
	ds_bpermute_b32 v35, v12, v34
	v_xor_b32_e32 v33, 2, v2
	v_cmp_lt_i32_e32 vcc, v33, v30
	;; [unrolled: 8-line block ×3, first 2 shown]
	s_waitcnt lgkmcnt(0)
	v_max_f32_e32 v41, v41, v41
	v_cndmask_b32_e32 v35, v2, v34, vcc
	v_lshlrev_b32_e32 v35, 2, v35
	v_max_f32_e32 v40, v40, v41
	ds_bpermute_b32 v41, v35, v40
	s_and_saveexec_b64 s[26:27], s[6:7]
	s_xor_b64 s[6:7], exec, s[26:27]
	s_cbranch_execz .LBB22_31
; %bb.30:                               ;   in Loop: Header=BB22_25 Depth=1
	v_add_f32_e64 v42, |v28|, |v28|
	v_mul_f32_e32 v43, 0x3fb8aa3b, v42
	v_rndne_f32_e32 v44, v43
	v_sub_f32_e32 v45, v43, v44
	v_fma_f32 v43, v42, s9, -v43
	v_fmac_f32_e32 v43, 0x32a5705f, v42
	v_add_f32_e32 v43, v45, v43
	v_cvt_i32_f32_e32 v44, v44
	v_exp_f32_e32 v43, v43
	v_cmp_ngt_f32_e32 vcc, s15, v42
	v_ldexp_f32 v43, v43, v44
	s_nop 0
	v_cndmask_b32_e32 v43, 0, v43, vcc
	v_cmp_nlt_f32_e32 vcc, s20, v42
	s_nop 1
	v_cndmask_b32_e32 v42, v23, v43, vcc
	v_add_f32_e32 v42, 1.0, v42
	v_rcp_f32_e32 v42, v42
	s_nop 0
	v_fma_f32 v42, v42, -2.0, 1.0
.LBB22_31:                              ;   in Loop: Header=BB22_25 Depth=1
	s_andn2_saveexec_b64 s[6:7], s[6:7]
; %bb.32:                               ;   in Loop: Header=BB22_25 Depth=1
	v_mul_f32_e32 v42, v28, v28
	v_fmamk_f32 v43, v42, 0xbbbac73d, v22
	v_fmaak_f32 v43, v42, v43, 0xbd5c1c4e
	v_fmaak_f32 v43, v42, v43, 0x3e088382
	;; [unrolled: 1-line block ×3, first 2 shown]
	v_mul_f32_e64 v43, |v28|, v43
	v_fma_f32 v42, v42, v43, |v28|
; %bb.33:                               ;   in Loop: Header=BB22_25 Depth=1
	s_or_b64 exec, exec, s[6:7]
	v_cvt_f32_f16_e32 v37, v37
	v_bfi_b32 v28, s21, v42, v28
	s_waitcnt lgkmcnt(0)
	v_max_f32_e32 v43, v41, v41
	v_max_f32_e32 v41, v26, v26
	v_fmac_f32_e32 v37, s10, v28
	v_add_f32_e32 v28, 0x40051340, v37
	v_max_f32_e32 v28, v41, v28
	ds_bpermute_b32 v38, v38, v28
	s_mul_hi_i32 s7, s2, s11
	s_mul_i32 s6, s2, s11
	v_max_f32_e32 v42, v40, v40
	s_waitcnt lgkmcnt(0)
	v_max_f32_e32 v38, v38, v38
	v_max_f32_e32 v28, v28, v38
	ds_bpermute_b32 v44, v39, v28
	v_lshl_add_u64 v[38:39], s[6:7], 2, v[10:11]
	s_barrier
	s_waitcnt lgkmcnt(0)
	global_load_dwordx4 v[38:41], v[38:39], off
	v_max_f32_e32 v44, v44, v44
	v_max_f32_e32 v28, v28, v44
	ds_bpermute_b32 v44, v12, v28
	v_max_f32_e32 v12, v42, v43
	v_sub_f32_e32 v27, v27, v12
	v_mul_f32_e32 v42, 0x3fb8aa3b, v27
	v_fma_f32 v43, v27, s9, -v42
	s_waitcnt lgkmcnt(0)
	v_max_f32_e32 v44, v44, v44
	v_max_f32_e32 v28, v28, v44
	ds_bpermute_b32 v36, v36, v28
	v_rndne_f32_e32 v44, v42
	v_fmac_f32_e32 v43, 0x32a5705f, v27
	v_sub_f32_e32 v42, v42, v44
	v_add_f32_e32 v42, v42, v43
	s_waitcnt lgkmcnt(0)
	v_max_f32_e32 v36, v36, v36
	v_max_f32_e32 v28, v28, v36
	ds_bpermute_b32 v35, v35, v28
	v_exp_f32_e32 v36, v42
	v_cvt_i32_f32_e32 v42, v44
	v_sub_f32_e32 v43, v13, v12
	v_cmp_ngt_f32_e32 vcc, s15, v27
	s_waitcnt lgkmcnt(0)
	v_max_f32_e32 v13, v35, v35
	v_max_f32_e32 v13, v28, v13
	v_mul_f32_e32 v28, 0x3fb8aa3b, v43
	v_ldexp_f32 v36, v36, v42
	v_fma_f32 v35, v43, s9, -v28
	v_rndne_f32_e32 v42, v28
	v_fmac_f32_e32 v35, 0x32a5705f, v43
	v_sub_f32_e32 v28, v28, v42
	v_add_f32_e32 v28, v28, v35
	v_exp_f32_e32 v28, v28
	v_cvt_i32_f32_e32 v35, v42
	v_sub_f32_e32 v26, v26, v13
	v_cndmask_b32_e32 v36, 0, v36, vcc
	v_cmp_nlt_f32_e32 vcc, s20, v27
	v_ldexp_f32 v27, v28, v35
	v_mul_f32_e32 v35, 0x3fb8aa3b, v26
	v_cndmask_b32_e32 v80, v23, v36, vcc
	v_fma_f32 v36, v26, s9, -v35
	v_rndne_f32_e32 v42, v35
	v_fmac_f32_e32 v36, 0x32a5705f, v26
	v_sub_f32_e32 v35, v35, v42
	v_add_f32_e32 v35, v35, v36
	v_cvt_f16_f32_e32 v28, v80
	v_exp_f32_e32 v35, v35
	v_cvt_i32_f32_e32 v36, v42
	v_cmp_ngt_f32_e32 vcc, s15, v43
	s_or_b32 s6, s2, 16
	s_mul_hi_i32 s7, s6, s11
	v_cndmask_b32_e32 v27, 0, v27, vcc
	v_cmp_nlt_f32_e32 vcc, s20, v43
	s_mul_i32 s6, s6, s11
	v_add_u32_e32 v84, 0x2000, v16
	v_cndmask_b32_e32 v82, v23, v27, vcc
	v_mul_u32_u24_e32 v27, 0x10001, v28
	v_ldexp_f32 v28, v35, v36
	v_sub_f32_e32 v35, v37, v13
	v_mul_f32_e32 v36, 0x3fb8aa3b, v35
	v_fma_f32 v37, v35, s9, -v36
	v_rndne_f32_e32 v42, v36
	v_fmac_f32_e32 v37, 0x32a5705f, v35
	v_sub_f32_e32 v36, v36, v42
	v_add_f32_e32 v36, v36, v37
	v_exp_f32_e32 v36, v36
	v_cvt_i32_f32_e32 v37, v42
	v_cmp_ngt_f32_e32 vcc, s15, v26
	v_pk_mul_f16 v25, v25, v27
	s_nop 0
	v_cndmask_b32_e32 v28, 0, v28, vcc
	v_cmp_nlt_f32_e32 vcc, s20, v26
	v_ldexp_f32 v26, v36, v37
	s_nop 0
	v_cndmask_b32_e32 v81, v23, v28, vcc
	v_cvt_f16_f32_e32 v28, v81
	v_cmp_ngt_f32_e32 vcc, s15, v35
	s_nop 1
	v_cndmask_b32_e32 v26, 0, v26, vcc
	v_cmp_nlt_f32_e32 vcc, s20, v35
	s_nop 1
	v_cndmask_b32_e32 v83, v23, v26, vcc
	v_mul_u32_u24_e32 v26, 0x10001, v28
	v_add_u32_e32 v28, v20, v15
	v_cvt_pk_f16_f32 v35, v82, v83
	ds_write_b32 v28, v35
	s_waitcnt vmcnt(0)
	ds_write_b128 v21, v[38:41]
	s_waitcnt lgkmcnt(0)
	s_barrier
	v_add_u32_e32 v28, 0x1800, v16
	ds_read_b128 v[36:39], v20
	ds_read2_b64 v[40:43], v28 offset1:32
	ds_read_b128 v[44:47], v20 offset:16
	ds_read_b128 v[48:51], v20 offset:32
	;; [unrolled: 1-line block ×3, first 2 shown]
	s_waitcnt lgkmcnt(4)
	v_mul_u32_u24_sdwa v35, v36, s24 dst_sel:DWORD dst_unused:UNUSED_PAD src0_sel:WORD_0 src1_sel:DWORD
	v_pk_mul_f16 v3, v3, v26
	v_mul_u32_u24_sdwa v36, v36, s24 dst_sel:DWORD dst_unused:UNUSED_PAD src0_sel:WORD_1 src1_sel:DWORD
	s_waitcnt lgkmcnt(3)
	v_pk_mul_f16 v56, v40, v35
	v_pk_fma_f16 v3, v41, v36, v3
	v_pk_fma_f16 v24, v24, v27, v56
	v_pk_mul_f16 v27, v40, v36
	v_mul_u32_u24_sdwa v36, v37, s24 dst_sel:DWORD dst_unused:UNUSED_PAD src0_sel:WORD_0 src1_sel:DWORD
	v_pk_fma_f16 v9, v9, v26, v27
	v_pk_fma_f16 v35, v41, v35, v25
	;; [unrolled: 1-line block ×3, first 2 shown]
	ds_read2_b64 v[24:27], v28 offset0:64 offset1:96
	v_mul_u32_u24_sdwa v37, v37, s24 dst_sel:DWORD dst_unused:UNUSED_PAD src0_sel:WORD_1 src1_sel:DWORD
	v_pk_fma_f16 v9, v42, v37, v9
	v_pk_fma_f16 v35, v43, v36, v35
	;; [unrolled: 1-line block ×3, first 2 shown]
	v_mul_u32_u24_sdwa v36, v38, s24 dst_sel:DWORD dst_unused:UNUSED_PAD src0_sel:WORD_0 src1_sel:DWORD
	v_mul_u32_u24_sdwa v37, v38, s24 dst_sel:DWORD dst_unused:UNUSED_PAD src0_sel:WORD_1 src1_sel:DWORD
	s_waitcnt lgkmcnt(0)
	v_pk_fma_f16 v38, v24, v36, v40
	v_pk_fma_f16 v9, v24, v37, v9
	;; [unrolled: 1-line block ×4, first 2 shown]
	v_lshl_add_u64 v[24:25], s[6:7], 2, v[10:11]
	ds_read2_b64 v[40:43], v28 offset0:128 offset1:160
	ds_read2_b64 v[56:59], v28 offset0:192 offset1:224
	ds_read2_b64 v[60:63], v84 offset1:32
	ds_read2_b64 v[64:67], v84 offset0:64 offset1:96
	ds_read2_b64 v[68:71], v84 offset0:128 offset1:160
	ds_read2_b64 v[72:75], v84 offset0:192 offset1:224
	s_waitcnt lgkmcnt(0)
	s_barrier
	global_load_dwordx4 v[76:79], v[24:25], off
	v_mul_u32_u24_sdwa v24, v39, s24 dst_sel:DWORD dst_unused:UNUSED_PAD src0_sel:WORD_0 src1_sel:DWORD
	v_mul_u32_u24_sdwa v25, v39, s24 dst_sel:DWORD dst_unused:UNUSED_PAD src0_sel:WORD_1 src1_sel:DWORD
	v_pk_fma_f16 v36, v26, v24, v38
	v_pk_fma_f16 v9, v26, v25, v9
	v_pk_fma_f16 v24, v27, v24, v35
	v_pk_fma_f16 v3, v27, v25, v3
	v_mul_u32_u24_sdwa v25, v44, s24 dst_sel:DWORD dst_unused:UNUSED_PAD src0_sel:WORD_0 src1_sel:DWORD
	v_mul_u32_u24_sdwa v26, v44, s24 dst_sel:DWORD dst_unused:UNUSED_PAD src0_sel:WORD_1 src1_sel:DWORD
	v_pk_fma_f16 v27, v40, v25, v36
	v_pk_fma_f16 v9, v40, v26, v9
	v_pk_fma_f16 v24, v41, v25, v24
	v_pk_fma_f16 v3, v41, v26, v3
	;; [unrolled: 6-line block ×13, first 2 shown]
	v_pk_fma_f32 v[4:5], v[4:5], v[80:81], v[82:83]
	s_waitcnt vmcnt(0)
	ds_write_b128 v21, v[76:79]
	s_waitcnt lgkmcnt(0)
	s_barrier
	ds_read_b128 v[24:27], v20 offset:64
	ds_read2_b64 v[36:39], v28 offset1:32
	ds_read_b128 v[40:43], v20 offset:80
	ds_read_b128 v[44:47], v20 offset:96
	ds_read_b128 v[48:51], v20 offset:112
	s_waitcnt lgkmcnt(4)
	v_mul_u32_u24_sdwa v53, v24, s24 dst_sel:DWORD dst_unused:UNUSED_PAD src0_sel:WORD_0 src1_sel:DWORD
	v_mul_u32_u24_sdwa v24, v24, s24 dst_sel:DWORD dst_unused:UNUSED_PAD src0_sel:WORD_1 src1_sel:DWORD
	s_waitcnt lgkmcnt(3)
	v_pk_fma_f16 v35, v36, v53, v35
	v_pk_fma_f16 v9, v36, v24, v9
	;; [unrolled: 1-line block ×3, first 2 shown]
	ds_read2_b64 v[52:55], v28 offset0:64 offset1:96
	v_pk_fma_f16 v3, v37, v24, v3
	v_mul_u32_u24_sdwa v24, v25, s24 dst_sel:DWORD dst_unused:UNUSED_PAD src0_sel:WORD_0 src1_sel:DWORD
	v_mul_u32_u24_sdwa v25, v25, s24 dst_sel:DWORD dst_unused:UNUSED_PAD src0_sel:WORD_1 src1_sel:DWORD
	v_pk_fma_f16 v35, v38, v24, v35
	v_pk_fma_f16 v9, v38, v25, v9
	;; [unrolled: 1-line block ×4, first 2 shown]
	v_mul_u32_u24_sdwa v25, v26, s24 dst_sel:DWORD dst_unused:UNUSED_PAD src0_sel:WORD_0 src1_sel:DWORD
	v_mul_u32_u24_sdwa v26, v26, s24 dst_sel:DWORD dst_unused:UNUSED_PAD src0_sel:WORD_1 src1_sel:DWORD
	s_waitcnt lgkmcnt(0)
	v_pk_fma_f16 v35, v52, v25, v35
	v_pk_fma_f16 v9, v52, v26, v9
	;; [unrolled: 1-line block ×4, first 2 shown]
	v_mul_u32_u24_sdwa v37, v27, s24 dst_sel:DWORD dst_unused:UNUSED_PAD src0_sel:WORD_0 src1_sel:DWORD
	v_mul_u32_u24_sdwa v38, v27, s24 dst_sel:DWORD dst_unused:UNUSED_PAD src0_sel:WORD_1 src1_sel:DWORD
	ds_read2_b64 v[24:27], v28 offset0:128 offset1:160
	v_pk_fma_f16 v35, v54, v37, v35
	v_pk_fma_f16 v9, v54, v38, v9
	;; [unrolled: 1-line block ×4, first 2 shown]
	v_mul_u32_u24_sdwa v37, v40, s24 dst_sel:DWORD dst_unused:UNUSED_PAD src0_sel:WORD_0 src1_sel:DWORD
	v_mul_u32_u24_sdwa v38, v40, s24 dst_sel:DWORD dst_unused:UNUSED_PAD src0_sel:WORD_1 src1_sel:DWORD
	s_waitcnt lgkmcnt(0)
	v_pk_fma_f16 v35, v24, v37, v35
	v_pk_fma_f16 v9, v24, v38, v9
	;; [unrolled: 1-line block ×4, first 2 shown]
	ds_read2_b64 v[36:39], v28 offset0:192 offset1:224
	v_mul_u32_u24_sdwa v25, v41, s24 dst_sel:DWORD dst_unused:UNUSED_PAD src0_sel:WORD_0 src1_sel:DWORD
	v_mul_u32_u24_sdwa v40, v41, s24 dst_sel:DWORD dst_unused:UNUSED_PAD src0_sel:WORD_1 src1_sel:DWORD
	v_pk_fma_f16 v35, v26, v25, v35
	v_pk_fma_f16 v24, v27, v25, v24
	v_mul_u32_u24_sdwa v25, v42, s24 dst_sel:DWORD dst_unused:UNUSED_PAD src0_sel:WORD_0 src1_sel:DWORD
	v_pk_fma_f16 v9, v26, v40, v9
	v_pk_fma_f16 v3, v27, v40, v3
	v_mul_u32_u24_sdwa v26, v42, s24 dst_sel:DWORD dst_unused:UNUSED_PAD src0_sel:WORD_1 src1_sel:DWORD
	s_waitcnt lgkmcnt(0)
	v_pk_fma_f16 v27, v36, v25, v35
	v_mul_u32_u24_sdwa v35, v43, s24 dst_sel:DWORD dst_unused:UNUSED_PAD src0_sel:WORD_0 src1_sel:DWORD
	v_pk_fma_f16 v9, v36, v26, v9
	v_pk_fma_f16 v28, v37, v25, v24
	;; [unrolled: 1-line block ×4, first 2 shown]
	ds_read2_b64 v[24:27], v84 offset1:32
	v_mul_u32_u24_sdwa v36, v43, s24 dst_sel:DWORD dst_unused:UNUSED_PAD src0_sel:WORD_1 src1_sel:DWORD
	v_pk_fma_f16 v9, v38, v36, v9
	v_pk_fma_f16 v28, v39, v35, v28
	;; [unrolled: 1-line block ×3, first 2 shown]
	v_mul_u32_u24_sdwa v35, v44, s24 dst_sel:DWORD dst_unused:UNUSED_PAD src0_sel:WORD_0 src1_sel:DWORD
	v_mul_u32_u24_sdwa v36, v44, s24 dst_sel:DWORD dst_unused:UNUSED_PAD src0_sel:WORD_1 src1_sel:DWORD
	s_waitcnt lgkmcnt(0)
	v_pk_fma_f16 v37, v24, v35, v37
	v_pk_fma_f16 v9, v24, v36, v9
	;; [unrolled: 1-line block ×4, first 2 shown]
	v_mul_u32_u24_sdwa v25, v45, s24 dst_sel:DWORD dst_unused:UNUSED_PAD src0_sel:WORD_0 src1_sel:DWORD
	v_pk_fma_f16 v35, v26, v25, v37
	ds_read2_b64 v[36:39], v84 offset0:64 offset1:96
	v_mul_u32_u24_sdwa v28, v45, s24 dst_sel:DWORD dst_unused:UNUSED_PAD src0_sel:WORD_1 src1_sel:DWORD
	v_pk_fma_f16 v24, v27, v25, v24
	v_mul_u32_u24_sdwa v25, v46, s24 dst_sel:DWORD dst_unused:UNUSED_PAD src0_sel:WORD_0 src1_sel:DWORD
	v_pk_fma_f16 v9, v26, v28, v9
	v_pk_fma_f16 v3, v27, v28, v3
	v_mul_u32_u24_sdwa v26, v46, s24 dst_sel:DWORD dst_unused:UNUSED_PAD src0_sel:WORD_1 src1_sel:DWORD
	s_waitcnt lgkmcnt(0)
	v_pk_fma_f16 v27, v36, v25, v35
	v_mul_u32_u24_sdwa v35, v47, s24 dst_sel:DWORD dst_unused:UNUSED_PAD src0_sel:WORD_0 src1_sel:DWORD
	v_pk_fma_f16 v9, v36, v26, v9
	v_pk_fma_f16 v28, v37, v25, v24
	;; [unrolled: 1-line block ×4, first 2 shown]
	ds_read2_b64 v[24:27], v84 offset0:128 offset1:160
	v_mul_u32_u24_sdwa v36, v47, s24 dst_sel:DWORD dst_unused:UNUSED_PAD src0_sel:WORD_1 src1_sel:DWORD
	v_pk_fma_f16 v9, v38, v36, v9
	v_pk_fma_f16 v28, v39, v35, v28
	;; [unrolled: 1-line block ×3, first 2 shown]
	v_mul_u32_u24_sdwa v35, v48, s24 dst_sel:DWORD dst_unused:UNUSED_PAD src0_sel:WORD_0 src1_sel:DWORD
	v_mul_u32_u24_sdwa v36, v48, s24 dst_sel:DWORD dst_unused:UNUSED_PAD src0_sel:WORD_1 src1_sel:DWORD
	s_waitcnt lgkmcnt(0)
	v_pk_fma_f16 v37, v24, v35, v37
	v_pk_fma_f16 v9, v24, v36, v9
	;; [unrolled: 1-line block ×4, first 2 shown]
	v_mul_u32_u24_sdwa v25, v49, s24 dst_sel:DWORD dst_unused:UNUSED_PAD src0_sel:WORD_0 src1_sel:DWORD
	v_pk_fma_f16 v35, v26, v25, v37
	ds_read2_b64 v[36:39], v84 offset0:192 offset1:224
	s_waitcnt lgkmcnt(0)
	s_barrier
	s_load_dword s6, s[4:5], 0x4
	v_mul_u32_u24_sdwa v28, v49, s24 dst_sel:DWORD dst_unused:UNUSED_PAD src0_sel:WORD_1 src1_sel:DWORD
	v_pk_fma_f16 v9, v26, v28, v9
	v_pk_fma_f16 v24, v27, v25, v24
	;; [unrolled: 1-line block ×3, first 2 shown]
	v_mul_u32_u24_sdwa v25, v50, s24 dst_sel:DWORD dst_unused:UNUSED_PAD src0_sel:WORD_0 src1_sel:DWORD
	v_mul_u32_u24_sdwa v26, v50, s24 dst_sel:DWORD dst_unused:UNUSED_PAD src0_sel:WORD_1 src1_sel:DWORD
	s_waitcnt lgkmcnt(0)
	s_lshl_b32 s6, s6, 5
	v_pk_fma_f16 v27, v36, v25, v35
	v_pk_fma_f16 v9, v36, v26, v9
	;; [unrolled: 1-line block ×4, first 2 shown]
	v_mul_u32_u24_sdwa v26, v51, s24 dst_sel:DWORD dst_unused:UNUSED_PAD src0_sel:WORD_0 src1_sel:DWORD
	v_mul_u32_u24_sdwa v28, v51, s24 dst_sel:DWORD dst_unused:UNUSED_PAD src0_sel:WORD_1 src1_sel:DWORD
	s_add_i32 s2, s6, s2
	v_pk_fma_f16 v24, v38, v26, v27
	v_pk_fma_f16 v9, v38, v28, v9
	v_pk_fma_f16 v25, v39, v26, v25
	s_cmp_ge_i32 s2, s28
	v_pk_fma_f16 v3, v39, v28, v3
	s_cbranch_scc1 .LBB22_11
; %bb.34:                               ;   in Loop: Header=BB22_25 Depth=1
	v_mov_b32_e32 v27, v12
	v_mov_b32_e32 v26, v13
	s_branch .LBB22_25
	.section	.rodata,"a",@progbits
	.p2align	6, 0x0
	.amdhsa_kernel _ZL15flash_attn_tileILi192ELi128ELi2ELi8ELb1EEvPKcS1_S1_S1_S1_PKiPfP15HIP_vector_typeIfLj2EEffffjfiS5_IjLj3EEiiiiiiiiiiiliiliiiiil
		.amdhsa_group_segment_fixed_size 11776
		.amdhsa_private_segment_fixed_size 0
		.amdhsa_kernarg_size 464
		.amdhsa_user_sgpr_count 2
		.amdhsa_user_sgpr_dispatch_ptr 0
		.amdhsa_user_sgpr_queue_ptr 0
		.amdhsa_user_sgpr_kernarg_segment_ptr 1
		.amdhsa_user_sgpr_dispatch_id 0
		.amdhsa_user_sgpr_kernarg_preload_length 0
		.amdhsa_user_sgpr_kernarg_preload_offset 0
		.amdhsa_user_sgpr_private_segment_size 0
		.amdhsa_uses_dynamic_stack 0
		.amdhsa_enable_private_segment 0
		.amdhsa_system_sgpr_workgroup_id_x 1
		.amdhsa_system_sgpr_workgroup_id_y 1
		.amdhsa_system_sgpr_workgroup_id_z 1
		.amdhsa_system_sgpr_workgroup_info 0
		.amdhsa_system_vgpr_workitem_id 1
		.amdhsa_next_free_vgpr 85
		.amdhsa_next_free_sgpr 44
		.amdhsa_accum_offset 88
		.amdhsa_reserve_vcc 1
		.amdhsa_float_round_mode_32 0
		.amdhsa_float_round_mode_16_64 0
		.amdhsa_float_denorm_mode_32 3
		.amdhsa_float_denorm_mode_16_64 3
		.amdhsa_dx10_clamp 1
		.amdhsa_ieee_mode 1
		.amdhsa_fp16_overflow 0
		.amdhsa_tg_split 0
		.amdhsa_exception_fp_ieee_invalid_op 0
		.amdhsa_exception_fp_denorm_src 0
		.amdhsa_exception_fp_ieee_div_zero 0
		.amdhsa_exception_fp_ieee_overflow 0
		.amdhsa_exception_fp_ieee_underflow 0
		.amdhsa_exception_fp_ieee_inexact 0
		.amdhsa_exception_int_div_zero 0
	.end_amdhsa_kernel
	.section	.text._ZL15flash_attn_tileILi192ELi128ELi2ELi8ELb1EEvPKcS1_S1_S1_S1_PKiPfP15HIP_vector_typeIfLj2EEffffjfiS5_IjLj3EEiiiiiiiiiiiliiliiiiil,"axG",@progbits,_ZL15flash_attn_tileILi192ELi128ELi2ELi8ELb1EEvPKcS1_S1_S1_S1_PKiPfP15HIP_vector_typeIfLj2EEffffjfiS5_IjLj3EEiiiiiiiiiiiliiliiiiil,comdat
.Lfunc_end22:
	.size	_ZL15flash_attn_tileILi192ELi128ELi2ELi8ELb1EEvPKcS1_S1_S1_S1_PKiPfP15HIP_vector_typeIfLj2EEffffjfiS5_IjLj3EEiiiiiiiiiiiliiliiiiil, .Lfunc_end22-_ZL15flash_attn_tileILi192ELi128ELi2ELi8ELb1EEvPKcS1_S1_S1_S1_PKiPfP15HIP_vector_typeIfLj2EEffffjfiS5_IjLj3EEiiiiiiiiiiiliiliiiiil
                                        ; -- End function
	.set _ZL15flash_attn_tileILi192ELi128ELi2ELi8ELb1EEvPKcS1_S1_S1_S1_PKiPfP15HIP_vector_typeIfLj2EEffffjfiS5_IjLj3EEiiiiiiiiiiiliiliiiiil.num_vgpr, 85
	.set _ZL15flash_attn_tileILi192ELi128ELi2ELi8ELb1EEvPKcS1_S1_S1_S1_PKiPfP15HIP_vector_typeIfLj2EEffffjfiS5_IjLj3EEiiiiiiiiiiiliiliiiiil.num_agpr, 0
	.set _ZL15flash_attn_tileILi192ELi128ELi2ELi8ELb1EEvPKcS1_S1_S1_S1_PKiPfP15HIP_vector_typeIfLj2EEffffjfiS5_IjLj3EEiiiiiiiiiiiliiliiiiil.numbered_sgpr, 44
	.set _ZL15flash_attn_tileILi192ELi128ELi2ELi8ELb1EEvPKcS1_S1_S1_S1_PKiPfP15HIP_vector_typeIfLj2EEffffjfiS5_IjLj3EEiiiiiiiiiiiliiliiiiil.num_named_barrier, 0
	.set _ZL15flash_attn_tileILi192ELi128ELi2ELi8ELb1EEvPKcS1_S1_S1_S1_PKiPfP15HIP_vector_typeIfLj2EEffffjfiS5_IjLj3EEiiiiiiiiiiiliiliiiiil.private_seg_size, 0
	.set _ZL15flash_attn_tileILi192ELi128ELi2ELi8ELb1EEvPKcS1_S1_S1_S1_PKiPfP15HIP_vector_typeIfLj2EEffffjfiS5_IjLj3EEiiiiiiiiiiiliiliiiiil.uses_vcc, 1
	.set _ZL15flash_attn_tileILi192ELi128ELi2ELi8ELb1EEvPKcS1_S1_S1_S1_PKiPfP15HIP_vector_typeIfLj2EEffffjfiS5_IjLj3EEiiiiiiiiiiiliiliiiiil.uses_flat_scratch, 0
	.set _ZL15flash_attn_tileILi192ELi128ELi2ELi8ELb1EEvPKcS1_S1_S1_S1_PKiPfP15HIP_vector_typeIfLj2EEffffjfiS5_IjLj3EEiiiiiiiiiiiliiliiiiil.has_dyn_sized_stack, 0
	.set _ZL15flash_attn_tileILi192ELi128ELi2ELi8ELb1EEvPKcS1_S1_S1_S1_PKiPfP15HIP_vector_typeIfLj2EEffffjfiS5_IjLj3EEiiiiiiiiiiiliiliiiiil.has_recursion, 0
	.set _ZL15flash_attn_tileILi192ELi128ELi2ELi8ELb1EEvPKcS1_S1_S1_S1_PKiPfP15HIP_vector_typeIfLj2EEffffjfiS5_IjLj3EEiiiiiiiiiiiliiliiiiil.has_indirect_call, 0
	.section	.AMDGPU.csdata,"",@progbits
; Kernel info:
; codeLenInByte = 10712
; TotalNumSgprs: 50
; NumVgprs: 85
; NumAgprs: 0
; TotalNumVgprs: 85
; ScratchSize: 0
; MemoryBound: 0
; FloatMode: 240
; IeeeMode: 1
; LDSByteSize: 11776 bytes/workgroup (compile time only)
; SGPRBlocks: 6
; VGPRBlocks: 10
; NumSGPRsForWavesPerEU: 50
; NumVGPRsForWavesPerEU: 85
; AccumOffset: 88
; Occupancy: 5
; WaveLimiterHint : 1
; COMPUTE_PGM_RSRC2:SCRATCH_EN: 0
; COMPUTE_PGM_RSRC2:USER_SGPR: 2
; COMPUTE_PGM_RSRC2:TRAP_HANDLER: 0
; COMPUTE_PGM_RSRC2:TGID_X_EN: 1
; COMPUTE_PGM_RSRC2:TGID_Y_EN: 1
; COMPUTE_PGM_RSRC2:TGID_Z_EN: 1
; COMPUTE_PGM_RSRC2:TIDIG_COMP_CNT: 1
; COMPUTE_PGM_RSRC3_GFX90A:ACCUM_OFFSET: 21
; COMPUTE_PGM_RSRC3_GFX90A:TG_SPLIT: 0
	.section	.text._ZL15flash_attn_tileILi192ELi128ELi1ELi8ELb1EEvPKcS1_S1_S1_S1_PKiPfP15HIP_vector_typeIfLj2EEffffjfiS5_IjLj3EEiiiiiiiiiiiliiliiiiil,"axG",@progbits,_ZL15flash_attn_tileILi192ELi128ELi1ELi8ELb1EEvPKcS1_S1_S1_S1_PKiPfP15HIP_vector_typeIfLj2EEffffjfiS5_IjLj3EEiiiiiiiiiiiliiliiiiil,comdat
	.globl	_ZL15flash_attn_tileILi192ELi128ELi1ELi8ELb1EEvPKcS1_S1_S1_S1_PKiPfP15HIP_vector_typeIfLj2EEffffjfiS5_IjLj3EEiiiiiiiiiiiliiliiiiil ; -- Begin function _ZL15flash_attn_tileILi192ELi128ELi1ELi8ELb1EEvPKcS1_S1_S1_S1_PKiPfP15HIP_vector_typeIfLj2EEffffjfiS5_IjLj3EEiiiiiiiiiiiliiliiiiil
	.p2align	8
	.type	_ZL15flash_attn_tileILi192ELi128ELi1ELi8ELb1EEvPKcS1_S1_S1_S1_PKiPfP15HIP_vector_typeIfLj2EEffffjfiS5_IjLj3EEiiiiiiiiiiiliiliiiiil,@function
_ZL15flash_attn_tileILi192ELi128ELi1ELi8ELb1EEvPKcS1_S1_S1_S1_PKiPfP15HIP_vector_typeIfLj2EEffffjfiS5_IjLj3EEiiiiiiiiiiiliiliiiiil: ; @_ZL15flash_attn_tileILi192ELi128ELi1ELi8ELb1EEvPKcS1_S1_S1_S1_PKiPfP15HIP_vector_typeIfLj2EEffffjfiS5_IjLj3EEiiiiiiiiiiiliiliiiiil
; %bb.0:
	s_load_dwordx4 s[20:23], s[0:1], 0x5c
	s_load_dwordx2 s[28:29], s[0:1], 0x80
	s_load_dwordx2 s[34:35], s[0:1], 0xb8
	s_mov_b64 s[30:31], 0
	s_waitcnt lgkmcnt(0)
	s_ashr_i32 s5, s23, 31
	s_lshr_b32 s5, s5, 29
	s_add_i32 s5, s23, s5
	s_ashr_i32 s5, s5, 3
	v_cvt_f32_u32_e32 v1, s5
	s_sub_i32 s6, 0, s5
	v_rcp_iflag_f32_e32 v1, v1
	s_nop 0
	v_mul_f32_e32 v1, 0x4f7ffffe, v1
	v_cvt_u32_f32_e32 v1, v1
	s_nop 0
	v_readfirstlane_b32 s7, v1
	s_mul_i32 s6, s6, s7
	s_mul_hi_u32 s6, s7, s6
	s_add_i32 s7, s7, s6
	s_mul_hi_u32 s6, s4, s7
	s_mul_i32 s7, s6, s5
	s_sub_i32 s7, s4, s7
	s_add_i32 s8, s6, 1
	s_sub_i32 s9, s7, s5
	s_cmp_ge_u32 s7, s5
	s_cselect_b32 s6, s8, s6
	s_cselect_b32 s7, s9, s7
	s_add_i32 s8, s6, 1
	s_cmp_ge_u32 s7, s5
	s_cselect_b32 s33, s8, s6
	s_abs_i32 s5, s29
	v_cvt_f32_u32_e32 v1, s5
	s_lshl_b32 s4, s4, 3
	s_mul_i32 s8, s33, s23
	s_xor_b32 s6, s23, s29
	v_rcp_iflag_f32_e32 v1, v1
	s_sub_i32 s9, 0, s5
	s_sub_i32 s29, s4, s8
	s_abs_i32 s7, s23
	v_mul_f32_e32 v1, 0x4f7ffffe, v1
	v_cvt_u32_f32_e32 v1, v1
	s_ashr_i32 s6, s6, 31
	v_readfirstlane_b32 s4, v1
	s_mul_i32 s9, s9, s4
	s_mul_hi_u32 s8, s4, s9
	s_add_i32 s4, s4, s8
	s_mul_hi_u32 s4, s7, s4
	s_mul_i32 s8, s4, s5
	s_sub_i32 s7, s7, s8
	s_add_i32 s9, s4, 1
	s_sub_i32 s8, s7, s5
	s_cmp_ge_u32 s7, s5
	s_cselect_b32 s4, s9, s4
	s_cselect_b32 s7, s8, s7
	s_add_i32 s8, s4, 1
	s_cmp_ge_u32 s7, s5
	s_cselect_b32 s4, s8, s4
	s_xor_b32 s4, s4, s6
	s_sub_i32 s37, s4, s6
	s_abs_i32 s36, s37
	v_cvt_f32_u32_e32 v1, s36
	s_load_dwordx16 s[4:19], s[0:1], 0x0
	v_rcp_iflag_f32_e32 v1, v1
	s_waitcnt lgkmcnt(0)
	s_cmp_eq_u64 s[10:11], 0
	v_mul_f32_e32 v1, 0x4f7ffffe, v1
	v_cvt_u32_f32_e32 v1, v1
	s_nop 0
	v_readfirstlane_b32 s38, v1
	s_cbranch_scc1 .LBB23_2
; %bb.1:
	s_abs_i32 s26, s34
	v_cvt_f32_u32_e32 v1, s26
	s_sub_i32 s31, 0, s26
	s_abs_i32 s30, s33
	s_ashr_i32 s27, s33, 31
	v_rcp_iflag_f32_e32 v1, v1
	s_load_dwordx2 s[24:25], s[0:1], 0xc8
	v_mul_f32_e32 v1, 0x4f7ffffe, v1
	v_cvt_u32_f32_e32 v1, v1
	s_nop 0
	v_readfirstlane_b32 s34, v1
	s_mul_i32 s31, s31, s34
	s_mul_hi_u32 s31, s34, s31
	s_add_i32 s34, s34, s31
	s_mul_hi_u32 s31, s30, s34
	s_mul_i32 s31, s31, s26
	s_sub_i32 s30, s30, s31
	s_sub_i32 s31, s30, s26
	s_cmp_ge_u32 s30, s26
	s_cselect_b32 s30, s31, s30
	s_sub_i32 s31, s30, s26
	s_cmp_ge_u32 s30, s26
	s_cselect_b32 s26, s31, s30
	s_xor_b32 s26, s26, s27
	s_sub_i32 s26, s26, s27
	s_ashr_i32 s27, s26, 31
	s_waitcnt lgkmcnt(0)
	s_mul_hi_u32 s30, s24, s26
	s_mul_i32 s27, s24, s27
	s_mul_i32 s25, s25, s26
	s_add_i32 s27, s30, s27
	s_add_i32 s27, s27, s25
	s_mul_i32 s24, s24, s26
	s_add_u32 s30, s10, s24
	s_addc_u32 s31, s11, s27
.LBB23_2:
	s_load_dwordx4 s[24:27], s[0:1], 0x70
	v_lshrrev_b32_e32 v1, 10, v0
	v_bfe_u32 v1, v1, 3, 7
	v_add_u32_e32 v3, s2, v1
	v_bfe_u32 v20, v0, 10, 3
	s_waitcnt lgkmcnt(0)
	s_mul_i32 s10, s33, s26
	s_ashr_i32 s26, s10, 31
	s_mul_i32 s11, s29, s25
	s_add_u32 s4, s4, s10
	s_addc_u32 s5, s5, s26
	s_ashr_i32 s10, s11, 31
	s_add_u32 s4, s4, s11
	s_addc_u32 s5, s5, s10
	s_ashr_i32 s11, s25, 31
	s_mov_b32 s10, s25
	s_lshr_b64 s[26:27], s[10:11], 2
	v_mul_hi_u32 v1, s20, v3
	s_lshr_b32 s25, s11, 2
	v_mad_u64_u32 v[4:5], s[10:11], s26, v20, 0
	v_add_u32_e32 v1, v3, v1
	v_mov_b32_e32 v6, v5
	v_lshrrev_b32_e32 v1, s21, v1
	v_mad_u64_u32 v[6:7], s[10:11], s25, v20, v[6:7]
	v_mul_lo_u32 v1, v1, s22
	s_ashr_i32 s25, s24, 31
	v_sub_u32_e32 v8, v3, v1
	s_lshr_b64 s[10:11], s[24:25], 2
	v_mov_b32_e32 v5, v6
	v_mad_u64_u32 v[6:7], s[10:11], s10, v8, 0
	v_mov_b32_e32 v10, v7
	s_lshr_b32 s10, s25, 2
	v_mad_u64_u32 v[10:11], s[10:11], s10, v8, v[10:11]
	v_and_b32_e32 v2, 0x3ff, v0
	v_mov_b32_e32 v7, v10
	v_lshl_add_u64 v[4:5], v[4:5], 2, s[4:5]
	v_lshl_add_u64 v[4:5], v[6:7], 2, v[4:5]
	v_lshlrev_b32_e32 v6, 4, v2
	v_mov_b32_e32 v7, 0
	v_lshl_add_u64 v[4:5], v[4:5], 0, v[6:7]
	global_load_dwordx4 v[10:13], v[4:5], off
	s_load_dword s4, s[0:1], 0x40
	s_movk_i32 s5, 0x180
	v_bfe_u32 v0, v0, 10, 10
	v_mov_b32_e32 v1, 0x2400
	v_mad_u32_u24 v22, v0, s5, v1
	v_lshlrev_b32_e32 v23, 3, v2
	v_add_u32_e32 v1, v22, v23
	v_cmp_gt_u32_e32 vcc, 16, v2
	s_waitcnt vmcnt(0) lgkmcnt(0)
	v_fma_mixlo_f16 v6, s4, v10, 0
	v_fma_mixlo_f16 v7, s4, v12, 0
	v_mov_b32_e32 v10, v13
	v_and_b32_e32 v9, 0xffff, v6
	v_and_b32_e32 v12, 0xffff, v7
	v_pk_mul_f32 v[6:7], s[4:5], v[10:11] op_sel_hi:[0,1]
	v_cvt_pk_f16_f32 v6, v6, v7
	v_lshlrev_b32_e32 v7, 16, v6
	v_and_b32_e32 v6, 0xffff0000, v6
	v_or_b32_e32 v6, v6, v9
	v_or3_b32 v7, v7, v12, 0
	v_or3_b32 v6, 0, 0, v6
	ds_write_b64 v1, v[6:7]
	s_and_saveexec_b64 s[10:11], vcc
	s_cbranch_execz .LBB23_4
; %bb.3:
	global_load_dwordx4 v[4:7], v[4:5], off offset:512
	s_mov_b32 s5, s4
	s_waitcnt vmcnt(0)
	v_fma_mixlo_f16 v9, s4, v4, 0
	v_mov_b32_e32 v4, v7
	v_pk_mul_f32 v[4:5], s[4:5], v[4:5]
	v_fma_mixlo_f16 v6, s4, v6, 0
	v_cvt_pk_f16_f32 v4, v4, v5
	v_and_b32_e32 v7, 0xffff, v9
	v_lshlrev_b32_e32 v5, 16, v4
	v_and_b32_e32 v4, 0xffff0000, v4
	v_and_b32_e32 v6, 0xffff, v6
	v_or_b32_e32 v4, v4, v7
	v_or3_b32 v5, v5, v6, 0
	v_or3_b32 v4, 0, 0, v4
	ds_write_b64 v1, v[4:5] offset:256
.LBB23_4:
	s_or_b64 exec, exec, s[10:11]
	s_cmp_eq_u64 s[14:15], 0
	s_waitcnt lgkmcnt(0)
	s_barrier
	s_cbranch_scc1 .LBB23_6
; %bb.5:
	s_load_dword s4, s[0:1], 0xd0
	s_mov_b32 s5, 0
	s_waitcnt lgkmcnt(0)
	s_mul_i32 s4, s4, s33
	s_add_i32 s4, s4, s2
	s_lshl_b64 s[4:5], s[4:5], 2
	s_add_u32 s4, s14, s4
	s_addc_u32 s5, s15, s5
	s_load_dword s28, s[4:5], 0x0
.LBB23_6:
	s_lshl_b32 s2, s3, 6
	s_waitcnt lgkmcnt(0)
	s_cmp_lt_i32 s2, s28
	v_mbcnt_lo_u32_b32 v16, -1, 0
	s_cbranch_scc1 .LBB23_11
; %bb.7:
	v_mbcnt_hi_u32_b32 v9, -1, v16
	v_and_b32_e32 v1, 0x60, v9
	v_add_u32_e32 v19, 32, v1
	v_xor_b32_e32 v18, 16, v9
	v_xor_b32_e32 v17, 8, v9
	v_xor_b32_e32 v37, 4, v9
	v_xor_b32_e32 v38, 2, v9
	v_xor_b32_e32 v39, 1, v9
	v_lshlrev_b32_e32 v21, 2, v2
	s_cbranch_execz .LBB23_12
; %bb.8:
	v_mov_b32_e32 v33, 0
	v_mov_b32_e32 v40, 0
	;; [unrolled: 1-line block ×4, first 2 shown]
.LBB23_9:
	v_cmp_lt_i32_e32 vcc, v18, v19
	s_cmp_lg_u64 s[12:13], 0
	s_cselect_b64 s[4:5], -1, 0
	v_cndmask_b32_e32 v0, v9, v18, vcc
	v_lshlrev_b32_e32 v0, 2, v0
	ds_bpermute_b32 v0, v0, v40
	v_cmp_lt_i32_e32 vcc, v17, v19
	s_cmp_eq_u32 s3, 0
	s_cselect_b64 s[6:7], -1, 0
	v_cndmask_b32_e32 v1, v9, v17, vcc
	v_lshlrev_b32_e32 v1, 2, v1
	s_waitcnt lgkmcnt(0)
	v_add_f32_e32 v0, v40, v0
	ds_bpermute_b32 v1, v1, v0
	v_cmp_lt_i32_e32 vcc, v37, v19
	s_and_b64 s[4:5], s[6:7], s[4:5]
	s_waitcnt lgkmcnt(0)
	v_add_f32_e32 v0, v0, v1
	v_cndmask_b32_e32 v4, v9, v37, vcc
	v_lshlrev_b32_e32 v4, 2, v4
	ds_bpermute_b32 v1, v4, v0
	v_cmp_lt_i32_e32 vcc, v38, v19
	s_waitcnt lgkmcnt(0)
	v_add_f32_e32 v1, v0, v1
	v_cndmask_b32_e32 v4, v9, v38, vcc
	v_lshlrev_b32_e32 v4, 2, v4
	ds_bpermute_b32 v4, v4, v1
	v_cmp_lt_i32_e32 vcc, v39, v19
	v_add_u32_e32 v0, s29, v20
	s_waitcnt lgkmcnt(0)
	v_add_f32_e32 v1, v1, v4
	v_cndmask_b32_e32 v5, v9, v39, vcc
	v_lshlrev_b32_e32 v5, 2, v5
	ds_bpermute_b32 v4, v5, v1
	s_and_b64 vcc, exec, s[4:5]
	s_waitcnt lgkmcnt(0)
	v_add_f32_e32 v17, v1, v4
	s_cbranch_vccz .LBB23_23
; %bb.10:
	v_ashrrev_i32_e32 v1, 31, v0
	v_lshl_add_u64 v[4:5], v[0:1], 2, s[12:13]
	global_load_dword v1, v[4:5], off
	v_max_f32_e32 v4, v16, v16
	s_mov_b32 s2, 0x3fb8aa3b
	s_mov_b32 s4, 0xc2ce8ed0
	s_waitcnt vmcnt(0)
	v_max_f32_e32 v5, v1, v1
	v_max_f32_e32 v4, v4, v5
	v_sub_f32_e32 v5, v16, v4
	v_sub_f32_e32 v1, v1, v4
	v_mul_f32_e32 v6, 0x3fb8aa3b, v5
	v_mul_f32_e32 v7, 0x3fb8aa3b, v1
	v_fma_f32 v8, v5, s2, -v6
	v_rndne_f32_e32 v9, v6
	v_fma_f32 v10, v1, s2, -v7
	v_rndne_f32_e32 v11, v7
	v_fmac_f32_e32 v8, 0x32a5705f, v5
	v_sub_f32_e32 v6, v6, v9
	v_fmac_f32_e32 v10, 0x32a5705f, v1
	v_sub_f32_e32 v7, v7, v11
	v_add_f32_e32 v6, v6, v8
	v_cvt_i32_f32_e32 v9, v9
	v_add_f32_e32 v7, v7, v10
	v_exp_f32_e32 v6, v6
	v_cvt_i32_f32_e32 v11, v11
	v_exp_f32_e32 v7, v7
	v_cmp_ngt_f32_e32 vcc, s4, v5
	v_ldexp_f32 v6, v6, v9
	s_mov_b32 s2, 0x42b17218
	v_ldexp_f32 v7, v7, v11
	v_cndmask_b32_e32 v6, 0, v6, vcc
	v_cmp_ngt_f32_e32 vcc, s4, v1
	v_mov_b32_e32 v8, 0x7f800000
	s_nop 0
	v_cndmask_b32_e32 v7, 0, v7, vcc
	v_cmp_nlt_f32_e32 vcc, s2, v5
	s_nop 1
	v_cndmask_b32_e32 v6, v8, v6, vcc
	v_cvt_f16_f32_e32 v9, v6
	v_cmp_nlt_f32_e32 vcc, s2, v1
	v_mul_u32_u24_e32 v1, 0x10001, v9
	s_nop 0
	v_cndmask_b32_e32 v5, v8, v7, vcc
	v_fmac_f32_e32 v5, v17, v6
	v_pk_mul_f16 v34, v34, v1
	v_pk_mul_f16 v33, v33, v1
	v_mov_b64_e32 v[16:17], v[4:5]
	s_branch .LBB23_24
.LBB23_11:
                                        ; implicit-def: $vgpr9
                                        ; implicit-def: $vgpr19
                                        ; implicit-def: $vgpr18
                                        ; implicit-def: $vgpr17
                                        ; implicit-def: $vgpr37
                                        ; implicit-def: $vgpr38
                                        ; implicit-def: $vgpr39
	v_lshlrev_b32_e32 v21, 2, v2
.LBB23_12:
	s_sub_i32 s4, 0, s36
	s_mul_i32 s4, s4, s38
	s_mul_hi_u32 s4, s38, s4
	s_add_i32 s38, s38, s4
	s_load_dwordx4 s[24:27], s[0:1], 0x98
	s_load_dword s10, s[0:1], 0x54
	s_load_dwordx2 s[4:5], s[0:1], 0x8c
	s_ashr_i32 s34, s37, 31
	s_abs_i32 s15, s29
	s_waitcnt lgkmcnt(0)
	s_ashr_i32 s11, s26, 2
	s_ashr_i32 s26, s35, 1
	;; [unrolled: 1-line block ×4, first 2 shown]
	s_mul_hi_u32 s35, s24, s33
	s_mul_i32 s37, s24, s4
	s_add_i32 s35, s35, s37
	s_mul_i32 s25, s25, s33
	s_mul_hi_u32 s20, s15, s38
	s_ashr_i32 s21, s29, 31
	s_add_i32 s35, s35, s25
	s_mul_i32 s24, s24, s33
	s_add_u32 s6, s6, s24
	s_mul_i32 s24, s20, s36
	s_addc_u32 s7, s7, s35
	s_sub_i32 s15, s15, s24
	s_xor_b32 s21, s21, s34
	s_add_i32 s24, s20, 1
	s_sub_i32 s25, s15, s36
	s_cmp_ge_u32 s15, s36
	s_cselect_b32 s20, s24, s20
	s_cselect_b32 s15, s25, s15
	s_add_i32 s24, s20, 1
	s_cmp_ge_u32 s15, s36
	s_load_dwordx2 s[38:39], s[0:1], 0xa8
	s_cselect_b32 s15, s24, s20
	s_xor_b32 s15, s15, s21
	s_sub_i32 s21, s15, s21
	s_mul_i32 s5, s21, s5
	s_ashr_i32 s20, s5, 31
	s_add_u32 s15, s6, s5
	s_waitcnt lgkmcnt(0)
	s_mul_hi_u32 s5, s38, s33
	s_mul_i32 s4, s38, s4
	s_addc_u32 s20, s7, s20
	s_add_i32 s4, s5, s4
	s_mul_i32 s5, s39, s33
	s_add_i32 s4, s4, s5
	s_mul_i32 s5, s38, s33
	s_add_u32 s5, s8, s5
	s_mul_i32 s21, s21, s27
	s_addc_u32 s4, s9, s4
	s_ashr_i32 s6, s21, 31
	s_add_u32 s8, s5, s21
	v_lshrrev_b32_e32 v1, 3, v2
	v_and_b32_e32 v10, 28, v21
	s_addc_u32 s9, s4, s6
	v_lshl_add_u32 v4, v0, 2, v1
	v_lshlrev_b32_e32 v5, 2, v10
	s_movk_i32 s4, 0x90
	v_mad_u32_u24 v24, v4, s4, v5
	v_mad_u64_u32 v[8:9], s[4:5], v8, s26, v[2:3]
	v_mov_b32_e32 v9, 0x3000
	v_lshl_add_u32 v27, v0, 7, v9
	v_lshrrev_b32_e32 v9, 4, v2
	v_lshl_add_u32 v9, v0, 1, v9
	v_and_b32_e32 v0, 60, v21
	v_mul_lo_u32 v12, s11, v9
	v_mul_lo_u32 v4, s14, v4
	v_lshlrev_b32_e32 v11, 2, v0
	v_lshl_add_u32 v14, s11, 4, v12
	v_mov_b32_e32 v1, 0
	v_lshl_add_u32 v6, s14, 5, v4
	v_lshl_or_b32 v29, v9, 8, v11
	v_ashrrev_i32_e32 v13, 31, v12
	v_ashrrev_i32_e32 v15, 31, v14
	s_add_u32 s4, s0, 0xd0
                                        ; implicit-def: $vgpr9
                                        ; implicit-def: $vgpr9
	;; [unrolled: 1-line block ×3, first 2 shown]
	v_ashrrev_i32_e32 v5, 31, v4
	v_add_u32_e32 v25, 0x1200, v24
	v_ashrrev_i32_e32 v7, 31, v6
	v_mul_u32_u24_e32 v26, 0x90, v2
	v_lshl_add_u32 v28, v2, 1, v27
	v_add_u32_e32 v30, 0x1000, v29
	s_addc_u32 s5, s1, 0
	v_mov_b32_e32 v36, 0xfeffffff
	v_lshlrev_b32_e32 v10, 2, v10
	v_mov_b32_e32 v11, v1
	s_mov_b32 s21, 0x3f200000
	s_mov_b32 s24, 0x3fb8aa3b
	;; [unrolled: 1-line block ×4, first 2 shown]
	v_mov_b32_e32 v31, 0x3ca908c9
	s_brev_b32 s27, -2
	s_mov_b32 s34, 0x10001
	v_lshlrev_b64 v[12:13], 2, v[12:13]
	v_lshlrev_b32_e32 v0, 2, v0
	v_lshlrev_b64 v[14:15], 2, v[14:15]
	v_mov_b32_e32 v32, 0x7f800000
	v_mbcnt_hi_u32_b32 v9, -1, v16
	v_mov_b32_e32 v34, v1
	v_mov_b32_e32 v33, v1
	;; [unrolled: 1-line block ×3, first 2 shown]
.LBB23_13:                              ; =>This Inner Loop Header: Depth=1
	s_mul_hi_i32 s7, s2, s14
	s_mul_i32 s6, s2, s14
	s_lshl_b64 s[6:7], s[6:7], 2
	s_add_u32 s6, s15, s6
	s_addc_u32 s7, s20, s7
	v_lshl_add_u64 v[16:17], v[4:5], 2, s[6:7]
	v_lshl_add_u64 v[16:17], v[16:17], 0, v[10:11]
	;; [unrolled: 1-line block ×4, first 2 shown]
	global_load_dwordx4 v[38:41], v[16:17], off
	global_load_dwordx4 v[42:45], v[18:19], off
	v_mov_b32_e32 v37, 0
	s_waitcnt vmcnt(1)
	ds_write_b128 v24, v[38:41]
	s_waitcnt vmcnt(0)
	ds_write_b128 v25, v[42:45]
	s_waitcnt lgkmcnt(0)
	s_barrier
	ds_read_b128 v[40:43], v26
	ds_read_b128 v[44:47], v22
	ds_read_b128 v[48:51], v26 offset:4608
	s_waitcnt lgkmcnt(1)
	;;#ASMSTART
	v_dot2_f32_f16 v37, v40, v44, v37
	;;#ASMEND
	s_nop 0
	;;#ASMSTART
	v_dot2_f32_f16 v37, v41, v45, v37
	;;#ASMEND
	v_mov_b32_e32 v38, 0
	;;#ASMSTART
	v_dot2_f32_f16 v37, v42, v46, v37
	;;#ASMEND
	s_nop 0
	;;#ASMSTART
	v_dot2_f32_f16 v37, v43, v47, v37
	;;#ASMEND
	s_waitcnt lgkmcnt(0)
	;;#ASMSTART
	v_dot2_f32_f16 v38, v48, v44, v38
	;;#ASMEND
	s_nop 0
	;;#ASMSTART
	v_dot2_f32_f16 v38, v49, v45, v38
	;;#ASMEND
	s_nop 0
	;;#ASMSTART
	v_dot2_f32_f16 v38, v50, v46, v38
	;;#ASMEND
	s_nop 0
	;;#ASMSTART
	v_dot2_f32_f16 v38, v51, v47, v38
	;;#ASMEND
	ds_read_b128 v[40:43], v26 offset:16
	ds_read_b128 v[44:47], v22 offset:16
	ds_read_b128 v[48:51], v26 offset:4624
	s_waitcnt lgkmcnt(1)
	;;#ASMSTART
	v_dot2_f32_f16 v37, v40, v44, v37
	;;#ASMEND
	s_nop 0
	;;#ASMSTART
	v_dot2_f32_f16 v37, v41, v45, v37
	;;#ASMEND
	s_nop 0
	;;#ASMSTART
	v_dot2_f32_f16 v37, v42, v46, v37
	;;#ASMEND
	s_nop 0
	;;#ASMSTART
	v_dot2_f32_f16 v37, v43, v47, v37
	;;#ASMEND
	s_waitcnt lgkmcnt(0)
	;;#ASMSTART
	v_dot2_f32_f16 v38, v48, v44, v38
	;;#ASMEND
	s_nop 0
	;;#ASMSTART
	v_dot2_f32_f16 v38, v49, v45, v38
	;;#ASMEND
	s_nop 0
	;;#ASMSTART
	v_dot2_f32_f16 v38, v50, v46, v38
	;;#ASMEND
	s_nop 0
	;;#ASMSTART
	v_dot2_f32_f16 v38, v51, v47, v38
	;;#ASMEND
	ds_read_b128 v[40:43], v26 offset:32
	ds_read_b128 v[44:47], v22 offset:32
	ds_read_b128 v[48:51], v26 offset:4640
	s_waitcnt lgkmcnt(1)
	;;#ASMSTART
	v_dot2_f32_f16 v37, v40, v44, v37
	;;#ASMEND
	s_nop 0
	;;#ASMSTART
	v_dot2_f32_f16 v37, v41, v45, v37
	;;#ASMEND
	s_nop 0
	;; [unrolled: 35-line block ×7, first 2 shown]
	;;#ASMSTART
	v_dot2_f32_f16 v37, v42, v46, v37
	;;#ASMEND
	s_nop 0
	;;#ASMSTART
	v_dot2_f32_f16 v37, v43, v47, v37
	;;#ASMEND
	s_waitcnt lgkmcnt(0)
	;;#ASMSTART
	v_dot2_f32_f16 v38, v48, v44, v38
	;;#ASMEND
	s_nop 0
	;;#ASMSTART
	v_dot2_f32_f16 v38, v49, v45, v38
	;;#ASMEND
	s_nop 0
	;; [unrolled: 4-line block ×3, first 2 shown]
	;;#ASMSTART
	v_dot2_f32_f16 v38, v51, v47, v38
	;;#ASMEND
	s_barrier
	global_load_dwordx4 v[40:43], v[16:17], off offset:128
	global_load_dwordx4 v[44:47], v[18:19], off offset:128
	s_waitcnt vmcnt(1)
	ds_write_b128 v24, v[40:43]
	s_waitcnt vmcnt(0)
	ds_write_b128 v25, v[44:47]
	s_waitcnt lgkmcnt(0)
	s_barrier
	ds_read_b128 v[40:43], v26
	ds_read_b128 v[44:47], v22 offset:128
	ds_read_b128 v[48:51], v26 offset:4608
	s_waitcnt lgkmcnt(1)
	;;#ASMSTART
	v_dot2_f32_f16 v37, v40, v44, v37
	;;#ASMEND
	s_nop 0
	;;#ASMSTART
	v_dot2_f32_f16 v37, v41, v45, v37
	;;#ASMEND
	s_nop 0
	;;#ASMSTART
	v_dot2_f32_f16 v37, v42, v46, v37
	;;#ASMEND
	s_nop 0
	;;#ASMSTART
	v_dot2_f32_f16 v37, v43, v47, v37
	;;#ASMEND
	s_waitcnt lgkmcnt(0)
	;;#ASMSTART
	v_dot2_f32_f16 v38, v48, v44, v38
	;;#ASMEND
	s_nop 0
	;;#ASMSTART
	v_dot2_f32_f16 v38, v49, v45, v38
	;;#ASMEND
	s_nop 0
	;;#ASMSTART
	v_dot2_f32_f16 v38, v50, v46, v38
	;;#ASMEND
	s_nop 0
	;;#ASMSTART
	v_dot2_f32_f16 v38, v51, v47, v38
	;;#ASMEND
	ds_read_b128 v[40:43], v26 offset:16
	ds_read_b128 v[44:47], v22 offset:144
	ds_read_b128 v[48:51], v26 offset:4624
	s_waitcnt lgkmcnt(1)
	;;#ASMSTART
	v_dot2_f32_f16 v37, v40, v44, v37
	;;#ASMEND
	s_nop 0
	;;#ASMSTART
	v_dot2_f32_f16 v37, v41, v45, v37
	;;#ASMEND
	s_nop 0
	;;#ASMSTART
	v_dot2_f32_f16 v37, v42, v46, v37
	;;#ASMEND
	s_nop 0
	;;#ASMSTART
	v_dot2_f32_f16 v37, v43, v47, v37
	;;#ASMEND
	s_waitcnt lgkmcnt(0)
	;;#ASMSTART
	v_dot2_f32_f16 v38, v48, v44, v38
	;;#ASMEND
	s_nop 0
	;;#ASMSTART
	v_dot2_f32_f16 v38, v49, v45, v38
	;;#ASMEND
	s_nop 0
	;;#ASMSTART
	v_dot2_f32_f16 v38, v50, v46, v38
	;;#ASMEND
	s_nop 0
	;;#ASMSTART
	v_dot2_f32_f16 v38, v51, v47, v38
	;;#ASMEND
	ds_read_b128 v[40:43], v26 offset:32
	;; [unrolled: 35-line block ×7, first 2 shown]
	ds_read_b128 v[44:47], v22 offset:240
	ds_read_b128 v[48:51], v26 offset:4720
	s_waitcnt lgkmcnt(1)
	;;#ASMSTART
	v_dot2_f32_f16 v37, v40, v44, v37
	;;#ASMEND
	s_nop 0
	;;#ASMSTART
	v_dot2_f32_f16 v37, v41, v45, v37
	;;#ASMEND
	s_nop 0
	;; [unrolled: 4-line block ×3, first 2 shown]
	;;#ASMSTART
	v_dot2_f32_f16 v37, v43, v47, v37
	;;#ASMEND
	s_waitcnt lgkmcnt(0)
	;;#ASMSTART
	v_dot2_f32_f16 v38, v48, v44, v38
	;;#ASMEND
	s_nop 0
	;;#ASMSTART
	v_dot2_f32_f16 v38, v49, v45, v38
	;;#ASMEND
	s_nop 0
	;; [unrolled: 4-line block ×3, first 2 shown]
	;;#ASMSTART
	v_dot2_f32_f16 v38, v51, v47, v38
	;;#ASMEND
	s_barrier
	global_load_dwordx4 v[40:43], v[16:17], off offset:256
	global_load_dwordx4 v[44:47], v[18:19], off offset:256
	s_waitcnt vmcnt(1)
	ds_write_b128 v24, v[40:43]
	s_waitcnt vmcnt(0)
	ds_write_b128 v25, v[44:47]
	s_waitcnt lgkmcnt(0)
	s_barrier
	ds_read_b128 v[16:19], v26
	ds_read_b128 v[40:43], v22 offset:256
	ds_read_b128 v[44:47], v26 offset:4608
	s_waitcnt lgkmcnt(1)
	;;#ASMSTART
	v_dot2_f32_f16 v37, v16, v40, v37
	;;#ASMEND
	s_nop 0
	;;#ASMSTART
	v_dot2_f32_f16 v37, v17, v41, v37
	;;#ASMEND
	s_nop 0
	;;#ASMSTART
	v_dot2_f32_f16 v37, v18, v42, v37
	;;#ASMEND
	s_nop 0
	;;#ASMSTART
	v_dot2_f32_f16 v37, v19, v43, v37
	;;#ASMEND
	s_waitcnt lgkmcnt(0)
	;;#ASMSTART
	v_dot2_f32_f16 v38, v44, v40, v38
	;;#ASMEND
	s_nop 0
	;;#ASMSTART
	v_dot2_f32_f16 v38, v45, v41, v38
	;;#ASMEND
	s_nop 0
	;;#ASMSTART
	v_dot2_f32_f16 v38, v46, v42, v38
	;;#ASMEND
	s_nop 0
	;;#ASMSTART
	v_dot2_f32_f16 v38, v47, v43, v38
	;;#ASMEND
	ds_read_b128 v[16:19], v26 offset:16
	ds_read_b128 v[40:43], v22 offset:272
	ds_read_b128 v[44:47], v26 offset:4624
	s_waitcnt lgkmcnt(1)
	;;#ASMSTART
	v_dot2_f32_f16 v37, v16, v40, v37
	;;#ASMEND
	s_nop 0
	;;#ASMSTART
	v_dot2_f32_f16 v37, v17, v41, v37
	;;#ASMEND
	s_nop 0
	;;#ASMSTART
	v_dot2_f32_f16 v37, v18, v42, v37
	;;#ASMEND
	s_nop 0
	;;#ASMSTART
	v_dot2_f32_f16 v37, v19, v43, v37
	;;#ASMEND
	s_waitcnt lgkmcnt(0)
	;;#ASMSTART
	v_dot2_f32_f16 v38, v44, v40, v38
	;;#ASMEND
	s_nop 0
	;;#ASMSTART
	v_dot2_f32_f16 v38, v45, v41, v38
	;;#ASMEND
	s_nop 0
	;;#ASMSTART
	v_dot2_f32_f16 v38, v46, v42, v38
	;;#ASMEND
	s_nop 0
	;;#ASMSTART
	v_dot2_f32_f16 v38, v47, v43, v38
	;;#ASMEND
	ds_read_b128 v[16:19], v26 offset:32
	ds_read_b128 v[40:43], v22 offset:288
	ds_read_b128 v[44:47], v26 offset:4640
	s_waitcnt lgkmcnt(1)
	;;#ASMSTART
	v_dot2_f32_f16 v37, v16, v40, v37
	;;#ASMEND
	s_nop 0
	;;#ASMSTART
	v_dot2_f32_f16 v37, v17, v41, v37
	;;#ASMEND
	s_nop 0
	;;#ASMSTART
	v_dot2_f32_f16 v37, v18, v42, v37
	;;#ASMEND
	s_nop 0
	;;#ASMSTART
	v_dot2_f32_f16 v37, v19, v43, v37
	;;#ASMEND
	s_waitcnt lgkmcnt(0)
	;;#ASMSTART
	v_dot2_f32_f16 v38, v44, v40, v38
	;;#ASMEND
	s_nop 0
	;;#ASMSTART
	v_dot2_f32_f16 v38, v45, v41, v38
	;;#ASMEND
	s_nop 0
	;;#ASMSTART
	v_dot2_f32_f16 v38, v46, v42, v38
	;;#ASMEND
	s_nop 0
	;;#ASMSTART
	v_dot2_f32_f16 v38, v47, v43, v38
	;;#ASMEND
	ds_read_b128 v[16:19], v26 offset:48
	ds_read_b128 v[40:43], v22 offset:304
	ds_read_b128 v[44:47], v26 offset:4656
	s_waitcnt lgkmcnt(1)
	;;#ASMSTART
	v_dot2_f32_f16 v37, v16, v40, v37
	;;#ASMEND
	s_nop 0
	;;#ASMSTART
	v_dot2_f32_f16 v37, v17, v41, v37
	;;#ASMEND
	s_nop 0
	;;#ASMSTART
	v_dot2_f32_f16 v37, v18, v42, v37
	;;#ASMEND
	s_nop 0
	;;#ASMSTART
	v_dot2_f32_f16 v37, v19, v43, v37
	;;#ASMEND
	s_waitcnt lgkmcnt(0)
	;;#ASMSTART
	v_dot2_f32_f16 v38, v44, v40, v38
	;;#ASMEND
	s_nop 0
	;;#ASMSTART
	v_dot2_f32_f16 v38, v45, v41, v38
	;;#ASMEND
	s_nop 0
	;;#ASMSTART
	v_dot2_f32_f16 v38, v46, v42, v38
	;;#ASMEND
	s_nop 0
	;;#ASMSTART
	v_dot2_f32_f16 v38, v47, v43, v38
	;;#ASMEND
	ds_read_b128 v[16:19], v26 offset:64
	ds_read_b128 v[40:43], v22 offset:320
	ds_read_b128 v[44:47], v26 offset:4672
	s_waitcnt lgkmcnt(1)
	;;#ASMSTART
	v_dot2_f32_f16 v37, v16, v40, v37
	;;#ASMEND
	s_nop 0
	;;#ASMSTART
	v_dot2_f32_f16 v37, v17, v41, v37
	;;#ASMEND
	s_nop 0
	;;#ASMSTART
	v_dot2_f32_f16 v37, v18, v42, v37
	;;#ASMEND
	s_nop 0
	;;#ASMSTART
	v_dot2_f32_f16 v37, v19, v43, v37
	;;#ASMEND
	s_waitcnt lgkmcnt(0)
	;;#ASMSTART
	v_dot2_f32_f16 v38, v44, v40, v38
	;;#ASMEND
	s_nop 0
	;;#ASMSTART
	v_dot2_f32_f16 v38, v45, v41, v38
	;;#ASMEND
	s_nop 0
	;;#ASMSTART
	v_dot2_f32_f16 v38, v46, v42, v38
	;;#ASMEND
	s_nop 0
	;;#ASMSTART
	v_dot2_f32_f16 v38, v47, v43, v38
	;;#ASMEND
	ds_read_b128 v[16:19], v26 offset:80
	ds_read_b128 v[40:43], v22 offset:336
	ds_read_b128 v[44:47], v26 offset:4688
	s_waitcnt lgkmcnt(1)
	;;#ASMSTART
	v_dot2_f32_f16 v37, v16, v40, v37
	;;#ASMEND
	s_nop 0
	;;#ASMSTART
	v_dot2_f32_f16 v37, v17, v41, v37
	;;#ASMEND
	s_nop 0
	;;#ASMSTART
	v_dot2_f32_f16 v37, v18, v42, v37
	;;#ASMEND
	s_nop 0
	;;#ASMSTART
	v_dot2_f32_f16 v37, v19, v43, v37
	;;#ASMEND
	s_waitcnt lgkmcnt(0)
	;;#ASMSTART
	v_dot2_f32_f16 v38, v44, v40, v38
	;;#ASMEND
	s_nop 0
	;;#ASMSTART
	v_dot2_f32_f16 v38, v45, v41, v38
	;;#ASMEND
	s_nop 0
	;;#ASMSTART
	v_dot2_f32_f16 v38, v46, v42, v38
	;;#ASMEND
	s_nop 0
	;;#ASMSTART
	v_dot2_f32_f16 v38, v47, v43, v38
	;;#ASMEND
	ds_read_b128 v[16:19], v26 offset:96
	ds_read_b128 v[40:43], v22 offset:352
	ds_read_b128 v[44:47], v26 offset:4704
	s_waitcnt lgkmcnt(1)
	;;#ASMSTART
	v_dot2_f32_f16 v37, v16, v40, v37
	;;#ASMEND
	s_nop 0
	;;#ASMSTART
	v_dot2_f32_f16 v37, v17, v41, v37
	;;#ASMEND
	s_nop 0
	;;#ASMSTART
	v_dot2_f32_f16 v37, v18, v42, v37
	;;#ASMEND
	s_nop 0
	;;#ASMSTART
	v_dot2_f32_f16 v37, v19, v43, v37
	;;#ASMEND
	s_waitcnt lgkmcnt(0)
	;;#ASMSTART
	v_dot2_f32_f16 v38, v44, v40, v38
	;;#ASMEND
	s_nop 0
	;;#ASMSTART
	v_dot2_f32_f16 v38, v45, v41, v38
	;;#ASMEND
	s_nop 0
	;;#ASMSTART
	v_dot2_f32_f16 v38, v46, v42, v38
	;;#ASMEND
	s_nop 0
	;;#ASMSTART
	v_dot2_f32_f16 v38, v47, v43, v38
	;;#ASMEND
	ds_read_b128 v[16:19], v26 offset:112
	ds_read_b128 v[40:43], v22 offset:368
	ds_read_b128 v[44:47], v26 offset:4720
	s_waitcnt lgkmcnt(1)
	;;#ASMSTART
	v_dot2_f32_f16 v37, v16, v40, v37
	;;#ASMEND
	s_nop 0
	;;#ASMSTART
	v_dot2_f32_f16 v37, v17, v41, v37
	;;#ASMEND
	s_nop 0
	;;#ASMSTART
	v_dot2_f32_f16 v37, v18, v42, v37
	;;#ASMEND
                                        ; implicit-def: $vgpr18
	s_nop 0
	;;#ASMSTART
	v_dot2_f32_f16 v37, v19, v43, v37
	;;#ASMEND
	s_waitcnt lgkmcnt(0)
	;;#ASMSTART
	v_dot2_f32_f16 v38, v44, v40, v38
	;;#ASMEND
	s_nop 0
	;;#ASMSTART
	v_dot2_f32_f16 v38, v45, v41, v38
	;;#ASMEND
	v_cmp_nlt_f32_e64 s[6:7], |v37|, s21
	;;#ASMSTART
	v_dot2_f32_f16 v38, v46, v42, v38
	;;#ASMEND
	s_nop 0
	;;#ASMSTART
	v_dot2_f32_f16 v38, v47, v43, v38
	;;#ASMEND
	s_and_saveexec_b64 s[36:37], s[6:7]
	s_xor_b64 s[6:7], exec, s[36:37]
	s_cbranch_execz .LBB23_15
; %bb.14:                               ;   in Loop: Header=BB23_13 Depth=1
	v_add_f32_e64 v16, |v37|, |v37|
	v_mul_f32_e32 v17, 0x3fb8aa3b, v16
	v_rndne_f32_e32 v18, v17
	v_sub_f32_e32 v19, v17, v18
	v_fma_f32 v17, v16, s24, -v17
	v_fmac_f32_e32 v17, 0x32a5705f, v16
	v_add_f32_e32 v17, v19, v17
	v_cvt_i32_f32_e32 v18, v18
	v_exp_f32_e32 v17, v17
	v_cmp_ngt_f32_e32 vcc, s25, v16
	v_ldexp_f32 v17, v17, v18
	s_nop 0
	v_cndmask_b32_e32 v17, 0, v17, vcc
	v_cmp_nlt_f32_e32 vcc, s26, v16
	s_nop 1
	v_cndmask_b32_e32 v16, v32, v17, vcc
	v_add_f32_e32 v16, 1.0, v16
	v_rcp_f32_e32 v16, v16
	s_nop 0
	v_fma_f32 v18, v16, -2.0, 1.0
.LBB23_15:                              ;   in Loop: Header=BB23_13 Depth=1
	s_andn2_saveexec_b64 s[6:7], s[6:7]
; %bb.16:                               ;   in Loop: Header=BB23_13 Depth=1
	v_mul_f32_e32 v16, v37, v37
	v_fmamk_f32 v17, v16, 0xbbbac73d, v31
	v_fmaak_f32 v17, v16, v17, 0xbd5c1c4e
	v_fmaak_f32 v17, v16, v17, 0x3e088382
	;; [unrolled: 1-line block ×3, first 2 shown]
	v_mul_f32_e64 v17, |v37|, v17
	v_fma_f32 v18, v16, v17, |v37|
; %bb.17:                               ;   in Loop: Header=BB23_13 Depth=1
	s_or_b64 exec, exec, s[6:7]
	v_add_u32_e32 v16, s2, v8
	v_ashrrev_i32_e32 v17, 31, v16
	v_lshl_add_u64 v[16:17], v[16:17], 1, s[30:31]
	global_load_ushort v19, v[16:17], off
	v_cmp_nlt_f32_e64 s[6:7], |v38|, s21
                                        ; implicit-def: $vgpr39
	s_and_saveexec_b64 s[36:37], s[6:7]
	s_xor_b64 s[6:7], exec, s[36:37]
	s_cbranch_execz .LBB23_19
; %bb.18:                               ;   in Loop: Header=BB23_13 Depth=1
	v_add_f32_e64 v39, |v38|, |v38|
	v_mul_f32_e32 v40, 0x3fb8aa3b, v39
	v_rndne_f32_e32 v41, v40
	v_sub_f32_e32 v42, v40, v41
	v_fma_f32 v40, v39, s24, -v40
	v_fmac_f32_e32 v40, 0x32a5705f, v39
	v_add_f32_e32 v40, v42, v40
	v_cvt_i32_f32_e32 v41, v41
	v_exp_f32_e32 v40, v40
	v_cmp_ngt_f32_e32 vcc, s25, v39
	v_ldexp_f32 v40, v40, v41
	s_nop 0
	v_cndmask_b32_e32 v40, 0, v40, vcc
	v_cmp_nlt_f32_e32 vcc, s26, v39
	s_nop 1
	v_cndmask_b32_e32 v39, v32, v40, vcc
	v_add_f32_e32 v39, 1.0, v39
	v_rcp_f32_e32 v39, v39
	s_nop 0
	v_fma_f32 v39, v39, -2.0, 1.0
.LBB23_19:                              ;   in Loop: Header=BB23_13 Depth=1
	s_andn2_saveexec_b64 s[6:7], s[6:7]
; %bb.20:                               ;   in Loop: Header=BB23_13 Depth=1
	v_mul_f32_e32 v39, v38, v38
	v_fmamk_f32 v40, v39, 0xbbbac73d, v31
	v_fmaak_f32 v40, v39, v40, 0xbd5c1c4e
	v_fmaak_f32 v40, v39, v40, 0x3e088382
	;; [unrolled: 1-line block ×3, first 2 shown]
	v_mul_f32_e64 v40, |v38|, v40
	v_fma_f32 v39, v39, v40, |v38|
; %bb.21:                               ;   in Loop: Header=BB23_13 Depth=1
	s_or_b64 exec, exec, s[6:7]
	global_load_ushort v16, v[16:17], off offset:64
	v_bfi_b32 v37, s27, v18, v37
	v_and_b32_e32 v40, 0x60, v9
	v_xor_b32_e32 v17, 8, v9
	s_mul_hi_i32 s7, s2, s11
	s_mul_i32 s6, s2, s11
	s_waitcnt vmcnt(1)
	v_fma_mix_f32 v50, s10, v37, v19 op_sel_hi:[0,0,1]
	v_add_u32_e32 v19, 32, v40
	v_xor_b32_e32 v18, 16, v9
	s_lshl_b64 s[6:7], s[6:7], 2
	v_cmp_lt_i32_e32 vcc, v17, v19
	v_bfi_b32 v42, s27, v39, v38
	s_add_u32 s6, s8, s6
	v_cndmask_b32_e32 v38, v9, v17, vcc
	v_cmp_lt_i32_e32 vcc, v18, v19
	s_addc_u32 s7, s9, s7
	v_add_f32_e32 v37, 0x40051340, v50
	v_cndmask_b32_e32 v39, v9, v18, vcc
	v_lshlrev_b32_e32 v43, 2, v39
	v_lshlrev_b32_e32 v51, 2, v38
	v_lshl_add_u64 v[38:39], s[6:7], 0, v[12:13]
	v_lshl_add_u64 v[40:41], s[6:7], 0, v[14:15]
	;; [unrolled: 1-line block ×3, first 2 shown]
	s_barrier
	v_lshl_add_u64 v[40:41], v[40:41], 0, v[0:1]
	v_add_u32_e32 v92, 0x800, v23
	s_or_b32 s6, s2, 32
	s_mul_hi_i32 s7, s6, s11
	s_mul_i32 s6, s6, s11
	s_lshl_b64 s[6:7], s[6:7], 2
	s_add_u32 s6, s8, s6
	s_addc_u32 s7, s9, s7
	v_add_u32_e32 v93, 0x1800, v23
	v_lshl_add_u64 v[82:83], s[6:7], 0, v[14:15]
	v_lshl_add_u64 v[90:91], v[82:83], 0, v[0:1]
	s_waitcnt vmcnt(0)
	v_fma_mix_f32 v52, s10, v42, v16 op_sel_hi:[0,0,1]
	v_add_f32_e32 v16, 0x40051340, v52
	v_max3_f32 v16, v36, v37, v16
	ds_bpermute_b32 v37, v43, v16
	global_load_dwordx4 v[42:45], v[38:39], off
	global_load_dwordx4 v[46:49], v[40:41], off
	s_waitcnt lgkmcnt(0)
	v_max_f32_e32 v37, v37, v37
	v_max_f32_e32 v16, v16, v37
	ds_bpermute_b32 v38, v51, v16
	v_xor_b32_e32 v37, 4, v9
	v_cmp_lt_i32_e32 vcc, v37, v19
	s_waitcnt lgkmcnt(0)
	v_max_f32_e32 v38, v38, v38
	v_cndmask_b32_e32 v39, v9, v37, vcc
	v_lshlrev_b32_e32 v39, 2, v39
	v_max_f32_e32 v16, v16, v38
	ds_bpermute_b32 v39, v39, v16
	v_xor_b32_e32 v38, 2, v9
	v_cmp_lt_i32_e32 vcc, v38, v19
	s_waitcnt lgkmcnt(0)
	v_max_f32_e32 v39, v39, v39
	v_cndmask_b32_e32 v40, v9, v38, vcc
	v_lshlrev_b32_e32 v40, 2, v40
	;; [unrolled: 8-line block ×3, first 2 shown]
	v_max_f32_e32 v16, v16, v40
	ds_bpermute_b32 v40, v41, v16
	s_waitcnt lgkmcnt(0)
	v_max_f32_e32 v40, v40, v40
	v_max_f32_e32 v16, v16, v40
	v_sub_f32_e32 v40, v50, v16
	v_sub_f32_e32 v41, v52, v16
	v_mul_f32_e32 v50, 0x3fb8aa3b, v40
	v_sub_f32_e32 v36, v36, v16
	v_mul_f32_e32 v51, 0x3fb8aa3b, v41
	v_fma_f32 v53, v40, s24, -v50
	v_rndne_f32_e32 v54, v50
	v_mul_f32_e32 v52, 0x3fb8aa3b, v36
	v_fma_f32 v55, v41, s24, -v51
	v_rndne_f32_e32 v56, v51
	v_fmac_f32_e32 v53, 0x32a5705f, v40
	v_sub_f32_e32 v50, v50, v54
	v_fma_f32 v57, v36, s24, -v52
	v_rndne_f32_e32 v58, v52
	v_fmac_f32_e32 v55, 0x32a5705f, v41
	v_sub_f32_e32 v51, v51, v56
	v_add_f32_e32 v50, v50, v53
	v_cvt_i32_f32_e32 v54, v54
	v_fmac_f32_e32 v57, 0x32a5705f, v36
	v_sub_f32_e32 v52, v52, v58
	v_add_f32_e32 v51, v51, v55
	v_exp_f32_e32 v50, v50
	v_cvt_i32_f32_e32 v56, v56
	v_add_f32_e32 v52, v52, v57
	v_exp_f32_e32 v51, v51
	v_cvt_i32_f32_e32 v58, v58
	v_exp_f32_e32 v52, v52
	v_ldexp_f32 v50, v50, v54
	v_cmp_ngt_f32_e32 vcc, s25, v40
	v_ldexp_f32 v51, v51, v56
	v_ldexp_f32 v52, v52, v58
	v_cndmask_b32_e32 v50, 0, v50, vcc
	v_cmp_ngt_f32_e32 vcc, s25, v41
	s_nop 1
	v_cndmask_b32_e32 v51, 0, v51, vcc
	v_cmp_ngt_f32_e32 vcc, s25, v36
	s_nop 1
	v_cndmask_b32_e32 v52, 0, v52, vcc
	v_cmp_nlt_f32_e32 vcc, s26, v40
	s_nop 1
	v_cndmask_b32_e32 v40, v32, v50, vcc
	v_cmp_nlt_f32_e32 vcc, s26, v41
	v_cvt_f16_f32_e32 v50, v40
	s_nop 0
	v_cndmask_b32_e32 v41, v32, v51, vcc
	v_cmp_nlt_f32_e32 vcc, s26, v36
	v_add_f32_e32 v40, v40, v41
	v_cvt_f16_f32_e32 v41, v41
	v_cndmask_b32_e32 v36, v32, v52, vcc
	v_cvt_f16_f32_e32 v51, v36
	v_fmac_f32_e32 v40, v35, v36
	ds_write_b16 v28, v50
	ds_write_b16 v28, v41 offset:64
	s_waitcnt vmcnt(1)
	ds_write_b128 v29, v[42:45]
	s_waitcnt vmcnt(0)
	ds_write_b128 v30, v[46:49]
	s_waitcnt lgkmcnt(0)
	v_mul_u32_u24_e32 v35, 0x10001, v51
	s_barrier
	ds_read2_b64 v[42:45], v23 offset1:32
	ds_read_b128 v[46:49], v27
	ds_read_b128 v[50:53], v27 offset:16
	ds_read_b128 v[54:57], v27 offset:32
	;; [unrolled: 1-line block ×3, first 2 shown]
	ds_read2_b64 v[62:65], v23 offset0:64 offset1:96
	ds_read2_b64 v[66:69], v23 offset0:128 offset1:160
	;; [unrolled: 1-line block ×3, first 2 shown]
	ds_read2_b64 v[74:77], v92 offset1:32
	s_waitcnt lgkmcnt(7)
	v_mul_u32_u24_sdwa v36, v46, s34 dst_sel:DWORD dst_unused:UNUSED_PAD src0_sel:WORD_0 src1_sel:DWORD
	v_pk_mul_f16 v42, v42, v36
	v_pk_mul_f16 v36, v43, v36
	v_mul_u32_u24_sdwa v41, v46, s34 dst_sel:DWORD dst_unused:UNUSED_PAD src0_sel:WORD_1 src1_sel:DWORD
	v_pk_fma_f16 v34, v34, v35, v42
	v_pk_fma_f16 v33, v33, v35, v36
	v_mul_u32_u24_sdwa v46, v47, s34 dst_sel:DWORD dst_unused:UNUSED_PAD src0_sel:WORD_0 src1_sel:DWORD
	v_pk_fma_f16 v34, v44, v41, v34
	v_pk_fma_f16 v33, v45, v41, v33
	v_mul_u32_u24_sdwa v47, v47, s34 dst_sel:DWORD dst_unused:UNUSED_PAD src0_sel:WORD_1 src1_sel:DWORD
	s_waitcnt lgkmcnt(3)
	v_pk_fma_f16 v34, v62, v46, v34
	v_pk_fma_f16 v33, v63, v46, v33
	v_mul_u32_u24_sdwa v78, v48, s34 dst_sel:DWORD dst_unused:UNUSED_PAD src0_sel:WORD_0 src1_sel:DWORD
	v_pk_fma_f16 v34, v64, v47, v34
	v_pk_fma_f16 v33, v65, v47, v33
	v_mul_u32_u24_sdwa v48, v48, s34 dst_sel:DWORD dst_unused:UNUSED_PAD src0_sel:WORD_1 src1_sel:DWORD
	s_waitcnt lgkmcnt(2)
	v_pk_fma_f16 v34, v66, v78, v34
	v_pk_fma_f16 v33, v67, v78, v33
	v_mul_u32_u24_sdwa v79, v49, s34 dst_sel:DWORD dst_unused:UNUSED_PAD src0_sel:WORD_0 src1_sel:DWORD
	v_pk_fma_f16 v34, v68, v48, v34
	v_pk_fma_f16 v33, v69, v48, v33
	ds_read2_b64 v[42:45], v92 offset0:64 offset1:96
	v_mul_u32_u24_sdwa v49, v49, s34 dst_sel:DWORD dst_unused:UNUSED_PAD src0_sel:WORD_1 src1_sel:DWORD
	s_waitcnt lgkmcnt(2)
	v_pk_fma_f16 v34, v70, v79, v34
	v_pk_fma_f16 v33, v71, v79, v33
	;; [unrolled: 1-line block ×4, first 2 shown]
	v_mul_u32_u24_sdwa v35, v50, s34 dst_sel:DWORD dst_unused:UNUSED_PAD src0_sel:WORD_0 src1_sel:DWORD
	s_waitcnt lgkmcnt(1)
	v_pk_fma_f16 v34, v74, v35, v34
	v_pk_fma_f16 v33, v75, v35, v33
	v_mul_u32_u24_sdwa v35, v50, s34 dst_sel:DWORD dst_unused:UNUSED_PAD src0_sel:WORD_1 src1_sel:DWORD
	v_pk_fma_f16 v34, v76, v35, v34
	v_pk_fma_f16 v33, v77, v35, v33
	v_mul_u32_u24_sdwa v35, v51, s34 dst_sel:DWORD dst_unused:UNUSED_PAD src0_sel:WORD_0 src1_sel:DWORD
	ds_read2_b64 v[46:49], v92 offset0:128 offset1:160
	s_waitcnt lgkmcnt(1)
	v_pk_fma_f16 v34, v42, v35, v34
	v_pk_fma_f16 v33, v43, v35, v33
	v_mul_u32_u24_sdwa v35, v51, s34 dst_sel:DWORD dst_unused:UNUSED_PAD src0_sel:WORD_1 src1_sel:DWORD
	v_pk_fma_f16 v34, v44, v35, v34
	v_pk_fma_f16 v33, v45, v35, v33
	ds_read2_b64 v[42:45], v92 offset0:192 offset1:224
	v_mul_u32_u24_sdwa v35, v52, s34 dst_sel:DWORD dst_unused:UNUSED_PAD src0_sel:WORD_0 src1_sel:DWORD
	s_waitcnt lgkmcnt(1)
	v_pk_fma_f16 v34, v46, v35, v34
	v_pk_fma_f16 v33, v47, v35, v33
	v_mul_u32_u24_sdwa v35, v52, s34 dst_sel:DWORD dst_unused:UNUSED_PAD src0_sel:WORD_1 src1_sel:DWORD
	v_pk_fma_f16 v34, v48, v35, v34
	v_pk_fma_f16 v33, v49, v35, v33
	v_mul_u32_u24_sdwa v35, v53, s34 dst_sel:DWORD dst_unused:UNUSED_PAD src0_sel:WORD_0 src1_sel:DWORD
	s_waitcnt lgkmcnt(0)
	v_pk_fma_f16 v34, v42, v35, v34
	v_pk_fma_f16 v33, v43, v35, v33
	v_mul_u32_u24_sdwa v35, v53, s34 dst_sel:DWORD dst_unused:UNUSED_PAD src0_sel:WORD_1 src1_sel:DWORD
	v_pk_fma_f16 v41, v44, v35, v34
	v_pk_fma_f16 v33, v45, v35, v33
	v_lshl_add_u64 v[34:35], s[6:7], 0, v[12:13]
	v_add_u32_e32 v36, 0x1000, v23
	v_lshl_add_u64 v[34:35], v[34:35], 0, v[0:1]
	ds_read2_b64 v[46:49], v36 offset1:32
	ds_read2_b64 v[42:45], v36 offset0:64 offset1:96
	ds_read2_b64 v[50:53], v36 offset0:128 offset1:160
	;; [unrolled: 1-line block ×3, first 2 shown]
	ds_read2_b64 v[66:69], v93 offset1:32
	ds_read2_b64 v[70:73], v93 offset0:64 offset1:96
	ds_read2_b64 v[74:77], v93 offset0:128 offset1:160
	;; [unrolled: 1-line block ×3, first 2 shown]
	s_waitcnt lgkmcnt(0)
	s_barrier
	global_load_dwordx4 v[82:85], v[34:35], off
	global_load_dwordx4 v[86:89], v[90:91], off
	v_mul_u32_u24_sdwa v34, v54, s34 dst_sel:DWORD dst_unused:UNUSED_PAD src0_sel:WORD_0 src1_sel:DWORD
	v_pk_fma_f16 v35, v46, v34, v41
	v_pk_fma_f16 v33, v47, v34, v33
	v_mul_u32_u24_sdwa v34, v54, s34 dst_sel:DWORD dst_unused:UNUSED_PAD src0_sel:WORD_1 src1_sel:DWORD
	v_pk_fma_f16 v35, v48, v34, v35
	v_pk_fma_f16 v33, v49, v34, v33
	v_mul_u32_u24_sdwa v34, v55, s34 dst_sel:DWORD dst_unused:UNUSED_PAD src0_sel:WORD_0 src1_sel:DWORD
	v_pk_fma_f16 v35, v42, v34, v35
	v_pk_fma_f16 v33, v43, v34, v33
	v_mul_u32_u24_sdwa v34, v55, s34 dst_sel:DWORD dst_unused:UNUSED_PAD src0_sel:WORD_1 src1_sel:DWORD
	v_pk_fma_f16 v35, v44, v34, v35
	v_pk_fma_f16 v33, v45, v34, v33
	;; [unrolled: 6-line block ×3, first 2 shown]
	v_mul_u32_u24_sdwa v34, v57, s34 dst_sel:DWORD dst_unused:UNUSED_PAD src0_sel:WORD_0 src1_sel:DWORD
	v_mul_u32_u24_sdwa v41, v57, s34 dst_sel:DWORD dst_unused:UNUSED_PAD src0_sel:WORD_1 src1_sel:DWORD
	v_pk_fma_f16 v35, v62, v34, v35
	v_pk_fma_f16 v33, v63, v34, v33
	;; [unrolled: 1-line block ×4, first 2 shown]
	v_mul_u32_u24_sdwa v35, v58, s34 dst_sel:DWORD dst_unused:UNUSED_PAD src0_sel:WORD_0 src1_sel:DWORD
	v_pk_fma_f16 v34, v66, v35, v34
	v_pk_fma_f16 v33, v67, v35, v33
	v_mul_u32_u24_sdwa v35, v58, s34 dst_sel:DWORD dst_unused:UNUSED_PAD src0_sel:WORD_1 src1_sel:DWORD
	v_pk_fma_f16 v34, v68, v35, v34
	v_pk_fma_f16 v33, v69, v35, v33
	v_mul_u32_u24_sdwa v35, v59, s34 dst_sel:DWORD dst_unused:UNUSED_PAD src0_sel:WORD_0 src1_sel:DWORD
	v_pk_fma_f16 v34, v70, v35, v34
	v_pk_fma_f16 v33, v71, v35, v33
	v_mul_u32_u24_sdwa v35, v59, s34 dst_sel:DWORD dst_unused:UNUSED_PAD src0_sel:WORD_1 src1_sel:DWORD
	v_pk_fma_f16 v34, v72, v35, v34
	v_pk_fma_f16 v33, v73, v35, v33
	;; [unrolled: 6-line block ×3, first 2 shown]
	v_mul_u32_u24_sdwa v35, v61, s34 dst_sel:DWORD dst_unused:UNUSED_PAD src0_sel:WORD_0 src1_sel:DWORD
	v_pk_fma_f16 v34, v78, v35, v34
	v_pk_fma_f16 v33, v79, v35, v33
	v_mul_u32_u24_sdwa v35, v61, s34 dst_sel:DWORD dst_unused:UNUSED_PAD src0_sel:WORD_1 src1_sel:DWORD
	s_waitcnt vmcnt(1)
	ds_write_b128 v29, v[82:85]
	s_waitcnt vmcnt(0)
	ds_write_b128 v30, v[86:89]
	s_waitcnt lgkmcnt(0)
	s_barrier
	ds_read_b128 v[42:45], v27 offset:64
	ds_read2_b64 v[46:49], v23 offset1:32
	ds_read_b128 v[50:53], v27 offset:80
	ds_read_b128 v[54:57], v27 offset:96
	ds_read_b128 v[58:61], v27 offset:112
	ds_read2_b64 v[62:65], v23 offset0:64 offset1:96
	v_pk_fma_f16 v34, v80, v35, v34
	v_pk_fma_f16 v33, v81, v35, v33
	s_waitcnt lgkmcnt(5)
	v_mul_u32_u24_sdwa v35, v42, s34 dst_sel:DWORD dst_unused:UNUSED_PAD src0_sel:WORD_0 src1_sel:DWORD
	s_waitcnt lgkmcnt(4)
	v_pk_fma_f16 v34, v46, v35, v34
	v_pk_fma_f16 v33, v47, v35, v33
	v_mul_u32_u24_sdwa v35, v42, s34 dst_sel:DWORD dst_unused:UNUSED_PAD src0_sel:WORD_1 src1_sel:DWORD
	v_pk_fma_f16 v34, v48, v35, v34
	v_pk_fma_f16 v33, v49, v35, v33
	ds_read2_b64 v[46:49], v23 offset0:128 offset1:160
	v_mul_u32_u24_sdwa v35, v43, s34 dst_sel:DWORD dst_unused:UNUSED_PAD src0_sel:WORD_0 src1_sel:DWORD
	s_waitcnt lgkmcnt(1)
	v_pk_fma_f16 v34, v62, v35, v34
	v_pk_fma_f16 v33, v63, v35, v33
	v_mul_u32_u24_sdwa v35, v43, s34 dst_sel:DWORD dst_unused:UNUSED_PAD src0_sel:WORD_1 src1_sel:DWORD
	v_pk_fma_f16 v34, v64, v35, v34
	v_pk_fma_f16 v33, v65, v35, v33
	ds_read2_b64 v[62:65], v23 offset0:192 offset1:224
	v_mul_u32_u24_sdwa v35, v44, s34 dst_sel:DWORD dst_unused:UNUSED_PAD src0_sel:WORD_0 src1_sel:DWORD
	s_waitcnt lgkmcnt(1)
	v_pk_fma_f16 v34, v46, v35, v34
	v_pk_fma_f16 v33, v47, v35, v33
	v_mul_u32_u24_sdwa v35, v44, s34 dst_sel:DWORD dst_unused:UNUSED_PAD src0_sel:WORD_1 src1_sel:DWORD
	v_pk_fma_f16 v34, v48, v35, v34
	v_pk_fma_f16 v33, v49, v35, v33
	ds_read2_b64 v[46:49], v92 offset1:32
	v_mul_u32_u24_sdwa v35, v45, s34 dst_sel:DWORD dst_unused:UNUSED_PAD src0_sel:WORD_0 src1_sel:DWORD
	s_waitcnt lgkmcnt(1)
	v_pk_fma_f16 v34, v62, v35, v34
	v_pk_fma_f16 v33, v63, v35, v33
	v_mul_u32_u24_sdwa v35, v45, s34 dst_sel:DWORD dst_unused:UNUSED_PAD src0_sel:WORD_1 src1_sel:DWORD
	ds_read2_b64 v[42:45], v92 offset0:64 offset1:96
	v_pk_fma_f16 v34, v64, v35, v34
	v_pk_fma_f16 v33, v65, v35, v33
	v_mul_u32_u24_sdwa v35, v50, s34 dst_sel:DWORD dst_unused:UNUSED_PAD src0_sel:WORD_0 src1_sel:DWORD
	s_waitcnt lgkmcnt(1)
	v_pk_fma_f16 v34, v46, v35, v34
	v_pk_fma_f16 v33, v47, v35, v33
	v_mul_u32_u24_sdwa v35, v50, s34 dst_sel:DWORD dst_unused:UNUSED_PAD src0_sel:WORD_1 src1_sel:DWORD
	v_pk_fma_f16 v34, v48, v35, v34
	v_pk_fma_f16 v33, v49, v35, v33
	v_mul_u32_u24_sdwa v35, v51, s34 dst_sel:DWORD dst_unused:UNUSED_PAD src0_sel:WORD_0 src1_sel:DWORD
	ds_read2_b64 v[46:49], v92 offset0:128 offset1:160
	s_waitcnt lgkmcnt(1)
	v_pk_fma_f16 v34, v42, v35, v34
	v_pk_fma_f16 v33, v43, v35, v33
	v_mul_u32_u24_sdwa v35, v51, s34 dst_sel:DWORD dst_unused:UNUSED_PAD src0_sel:WORD_1 src1_sel:DWORD
	v_pk_fma_f16 v34, v44, v35, v34
	v_pk_fma_f16 v33, v45, v35, v33
	ds_read2_b64 v[42:45], v92 offset0:192 offset1:224
	v_mul_u32_u24_sdwa v35, v52, s34 dst_sel:DWORD dst_unused:UNUSED_PAD src0_sel:WORD_0 src1_sel:DWORD
	s_waitcnt lgkmcnt(1)
	v_pk_fma_f16 v34, v46, v35, v34
	v_pk_fma_f16 v33, v47, v35, v33
	v_mul_u32_u24_sdwa v35, v52, s34 dst_sel:DWORD dst_unused:UNUSED_PAD src0_sel:WORD_1 src1_sel:DWORD
	v_pk_fma_f16 v34, v48, v35, v34
	v_pk_fma_f16 v33, v49, v35, v33
	v_mul_u32_u24_sdwa v35, v53, s34 dst_sel:DWORD dst_unused:UNUSED_PAD src0_sel:WORD_0 src1_sel:DWORD
	ds_read2_b64 v[46:49], v36 offset1:32
	s_waitcnt lgkmcnt(1)
	v_pk_fma_f16 v34, v42, v35, v34
	v_pk_fma_f16 v33, v43, v35, v33
	v_mul_u32_u24_sdwa v35, v53, s34 dst_sel:DWORD dst_unused:UNUSED_PAD src0_sel:WORD_1 src1_sel:DWORD
	v_pk_fma_f16 v34, v44, v35, v34
	v_pk_fma_f16 v33, v45, v35, v33
	ds_read2_b64 v[42:45], v36 offset0:64 offset1:96
	v_mul_u32_u24_sdwa v35, v54, s34 dst_sel:DWORD dst_unused:UNUSED_PAD src0_sel:WORD_0 src1_sel:DWORD
	s_waitcnt lgkmcnt(1)
	v_pk_fma_f16 v34, v46, v35, v34
	v_pk_fma_f16 v33, v47, v35, v33
	v_mul_u32_u24_sdwa v35, v54, s34 dst_sel:DWORD dst_unused:UNUSED_PAD src0_sel:WORD_1 src1_sel:DWORD
	v_pk_fma_f16 v34, v48, v35, v34
	v_pk_fma_f16 v33, v49, v35, v33
	v_mul_u32_u24_sdwa v35, v55, s34 dst_sel:DWORD dst_unused:UNUSED_PAD src0_sel:WORD_0 src1_sel:DWORD
	ds_read2_b64 v[46:49], v36 offset0:128 offset1:160
	s_waitcnt lgkmcnt(1)
	v_pk_fma_f16 v34, v42, v35, v34
	v_pk_fma_f16 v33, v43, v35, v33
	v_mul_u32_u24_sdwa v35, v55, s34 dst_sel:DWORD dst_unused:UNUSED_PAD src0_sel:WORD_1 src1_sel:DWORD
	v_pk_fma_f16 v34, v44, v35, v34
	v_pk_fma_f16 v33, v45, v35, v33
	ds_read2_b64 v[42:45], v36 offset0:192 offset1:224
	v_mul_u32_u24_sdwa v35, v56, s34 dst_sel:DWORD dst_unused:UNUSED_PAD src0_sel:WORD_0 src1_sel:DWORD
	s_waitcnt lgkmcnt(1)
	v_pk_fma_f16 v34, v46, v35, v34
	v_pk_fma_f16 v33, v47, v35, v33
	v_mul_u32_u24_sdwa v35, v56, s34 dst_sel:DWORD dst_unused:UNUSED_PAD src0_sel:WORD_1 src1_sel:DWORD
	v_pk_fma_f16 v34, v48, v35, v34
	v_pk_fma_f16 v33, v49, v35, v33
	v_mul_u32_u24_sdwa v35, v57, s34 dst_sel:DWORD dst_unused:UNUSED_PAD src0_sel:WORD_0 src1_sel:DWORD
	ds_read2_b64 v[46:49], v93 offset1:32
	s_waitcnt lgkmcnt(1)
	v_pk_fma_f16 v34, v42, v35, v34
	v_pk_fma_f16 v33, v43, v35, v33
	v_mul_u32_u24_sdwa v35, v57, s34 dst_sel:DWORD dst_unused:UNUSED_PAD src0_sel:WORD_1 src1_sel:DWORD
	v_pk_fma_f16 v34, v44, v35, v34
	v_pk_fma_f16 v33, v45, v35, v33
	ds_read2_b64 v[42:45], v93 offset0:64 offset1:96
	v_mul_u32_u24_sdwa v35, v58, s34 dst_sel:DWORD dst_unused:UNUSED_PAD src0_sel:WORD_0 src1_sel:DWORD
	s_waitcnt lgkmcnt(1)
	v_pk_fma_f16 v34, v46, v35, v34
	v_pk_fma_f16 v33, v47, v35, v33
	v_mul_u32_u24_sdwa v35, v58, s34 dst_sel:DWORD dst_unused:UNUSED_PAD src0_sel:WORD_1 src1_sel:DWORD
	v_pk_fma_f16 v34, v48, v35, v34
	v_pk_fma_f16 v33, v49, v35, v33
	v_mul_u32_u24_sdwa v35, v59, s34 dst_sel:DWORD dst_unused:UNUSED_PAD src0_sel:WORD_0 src1_sel:DWORD
	s_waitcnt lgkmcnt(0)
	v_pk_fma_f16 v34, v42, v35, v34
	v_pk_fma_f16 v33, v43, v35, v33
	ds_read2_b64 v[46:49], v93 offset0:128 offset1:160
	v_mul_u32_u24_sdwa v35, v59, s34 dst_sel:DWORD dst_unused:UNUSED_PAD src0_sel:WORD_1 src1_sel:DWORD
	v_pk_fma_f16 v34, v44, v35, v34
	v_pk_fma_f16 v33, v45, v35, v33
	ds_read2_b64 v[42:45], v93 offset0:192 offset1:224
	s_waitcnt lgkmcnt(0)
	s_barrier
	s_load_dword s6, s[4:5], 0x4
	v_mul_u32_u24_sdwa v35, v60, s34 dst_sel:DWORD dst_unused:UNUSED_PAD src0_sel:WORD_0 src1_sel:DWORD
	v_pk_fma_f16 v34, v46, v35, v34
	v_pk_fma_f16 v33, v47, v35, v33
	v_mul_u32_u24_sdwa v35, v60, s34 dst_sel:DWORD dst_unused:UNUSED_PAD src0_sel:WORD_1 src1_sel:DWORD
	v_pk_fma_f16 v34, v48, v35, v34
	v_pk_fma_f16 v33, v49, v35, v33
	v_mul_u32_u24_sdwa v35, v61, s34 dst_sel:DWORD dst_unused:UNUSED_PAD src0_sel:WORD_0 src1_sel:DWORD
	s_waitcnt lgkmcnt(0)
	s_lshl_b32 s6, s6, 6
	v_pk_fma_f16 v34, v42, v35, v34
	v_pk_fma_f16 v33, v43, v35, v33
	v_mul_u32_u24_sdwa v35, v61, s34 dst_sel:DWORD dst_unused:UNUSED_PAD src0_sel:WORD_1 src1_sel:DWORD
	s_add_i32 s2, s6, s2
	v_pk_fma_f16 v34, v44, v35, v34
	s_cmp_ge_i32 s2, s28
	v_pk_fma_f16 v33, v45, v35, v33
	s_cbranch_scc1 .LBB23_9
; %bb.22:                               ;   in Loop: Header=BB23_13 Depth=1
	v_mov_b32_e32 v36, v16
	v_mov_b32_e32 v35, v40
	s_branch .LBB23_13
.LBB23_23:
	v_mov_b32_e32 v5, v17
.LBB23_24:
	s_load_dword s2, s[0:1], 0xd4
	v_div_scale_f32 v1, s[0:1], v5, v5, 1.0
	v_rcp_f32_e32 v4, v1
	s_mul_i32 s33, s33, s22
	s_waitcnt lgkmcnt(0)
	s_cmp_lg_u32 s2, 1
	s_cselect_b64 s[0:1], -1, 0
	v_fma_f32 v8, -v1, v4, 1.0
	v_fmac_f32_e32 v4, v8, v4
	v_div_scale_f32 v8, vcc, 1.0, v5, 1.0
	v_mul_f32_e32 v9, v8, v4
	v_fma_f32 v10, -v1, v9, v8
	v_fmac_f32_e32 v9, v10, v4
	v_fma_f32 v1, -v1, v9, v8
	v_div_fmas_f32 v1, v1, v4, v9
	v_div_fixup_f32 v1, v1, v5, 1.0
	v_cndmask_b32_e64 v4, v1, 1.0, s[0:1]
	v_add_u32_e32 v1, s33, v3
	v_mad_u64_u32 v[0:1], s[4:5], v1, s23, v[0:1]
	v_cmp_eq_u32_e32 vcc, 0, v2
	v_cvt_f32_f16_sdwa v3, v34 dst_sel:DWORD dst_unused:UNUSED_PAD src0_sel:WORD_1
	v_cvt_f32_f16_e32 v2, v34
	v_cvt_f32_f16_sdwa v11, v33 dst_sel:DWORD dst_unused:UNUSED_PAD src0_sel:WORD_1
	v_cvt_f32_f16_e32 v10, v33
	v_mul_lo_u32 v0, s2, v0
	v_add_u32_e32 v0, s3, v0
	v_mov_b32_e32 v6, s16
	v_mov_b32_e32 v7, s17
	v_lshl_add_u32 v8, v0, 7, v21
	v_mov_b32_e32 v9, 0
	v_lshl_add_u64 v[6:7], v[8:9], 2, v[6:7]
	s_and_b64 s[0:1], vcc, s[0:1]
	v_pk_mul_f32 v[2:3], v[4:5], v[2:3] op_sel_hi:[0,1]
	v_pk_mul_f32 v[4:5], v[4:5], v[10:11] op_sel_hi:[0,1]
	global_store_dwordx4 v[6:7], v[2:5], off
	s_and_saveexec_b64 s[2:3], s[0:1]
	s_cbranch_execz .LBB23_26
; %bb.25:
	v_mov_b32_e32 v2, s18
	v_mov_b32_e32 v3, s19
	v_ashrrev_i32_e32 v1, 31, v0
	v_lshl_add_u64 v[0:1], v[0:1], 3, v[2:3]
	global_store_dwordx2 v[0:1], v[16:17], off
.LBB23_26:
	s_endpgm
	.section	.rodata,"a",@progbits
	.p2align	6, 0x0
	.amdhsa_kernel _ZL15flash_attn_tileILi192ELi128ELi1ELi8ELb1EEvPKcS1_S1_S1_S1_PKiPfP15HIP_vector_typeIfLj2EEffffjfiS5_IjLj3EEiiiiiiiiiiiliiliiiiil
		.amdhsa_group_segment_fixed_size 13312
		.amdhsa_private_segment_fixed_size 0
		.amdhsa_kernarg_size 464
		.amdhsa_user_sgpr_count 2
		.amdhsa_user_sgpr_dispatch_ptr 0
		.amdhsa_user_sgpr_queue_ptr 0
		.amdhsa_user_sgpr_kernarg_segment_ptr 1
		.amdhsa_user_sgpr_dispatch_id 0
		.amdhsa_user_sgpr_kernarg_preload_length 0
		.amdhsa_user_sgpr_kernarg_preload_offset 0
		.amdhsa_user_sgpr_private_segment_size 0
		.amdhsa_uses_dynamic_stack 0
		.amdhsa_enable_private_segment 0
		.amdhsa_system_sgpr_workgroup_id_x 1
		.amdhsa_system_sgpr_workgroup_id_y 1
		.amdhsa_system_sgpr_workgroup_id_z 1
		.amdhsa_system_sgpr_workgroup_info 0
		.amdhsa_system_vgpr_workitem_id 1
		.amdhsa_next_free_vgpr 94
		.amdhsa_next_free_sgpr 40
		.amdhsa_accum_offset 96
		.amdhsa_reserve_vcc 1
		.amdhsa_float_round_mode_32 0
		.amdhsa_float_round_mode_16_64 0
		.amdhsa_float_denorm_mode_32 3
		.amdhsa_float_denorm_mode_16_64 3
		.amdhsa_dx10_clamp 1
		.amdhsa_ieee_mode 1
		.amdhsa_fp16_overflow 0
		.amdhsa_tg_split 0
		.amdhsa_exception_fp_ieee_invalid_op 0
		.amdhsa_exception_fp_denorm_src 0
		.amdhsa_exception_fp_ieee_div_zero 0
		.amdhsa_exception_fp_ieee_overflow 0
		.amdhsa_exception_fp_ieee_underflow 0
		.amdhsa_exception_fp_ieee_inexact 0
		.amdhsa_exception_int_div_zero 0
	.end_amdhsa_kernel
	.section	.text._ZL15flash_attn_tileILi192ELi128ELi1ELi8ELb1EEvPKcS1_S1_S1_S1_PKiPfP15HIP_vector_typeIfLj2EEffffjfiS5_IjLj3EEiiiiiiiiiiiliiliiiiil,"axG",@progbits,_ZL15flash_attn_tileILi192ELi128ELi1ELi8ELb1EEvPKcS1_S1_S1_S1_PKiPfP15HIP_vector_typeIfLj2EEffffjfiS5_IjLj3EEiiiiiiiiiiiliiliiiiil,comdat
.Lfunc_end23:
	.size	_ZL15flash_attn_tileILi192ELi128ELi1ELi8ELb1EEvPKcS1_S1_S1_S1_PKiPfP15HIP_vector_typeIfLj2EEffffjfiS5_IjLj3EEiiiiiiiiiiiliiliiiiil, .Lfunc_end23-_ZL15flash_attn_tileILi192ELi128ELi1ELi8ELb1EEvPKcS1_S1_S1_S1_PKiPfP15HIP_vector_typeIfLj2EEffffjfiS5_IjLj3EEiiiiiiiiiiiliiliiiiil
                                        ; -- End function
	.set _ZL15flash_attn_tileILi192ELi128ELi1ELi8ELb1EEvPKcS1_S1_S1_S1_PKiPfP15HIP_vector_typeIfLj2EEffffjfiS5_IjLj3EEiiiiiiiiiiiliiliiiiil.num_vgpr, 94
	.set _ZL15flash_attn_tileILi192ELi128ELi1ELi8ELb1EEvPKcS1_S1_S1_S1_PKiPfP15HIP_vector_typeIfLj2EEffffjfiS5_IjLj3EEiiiiiiiiiiiliiliiiiil.num_agpr, 0
	.set _ZL15flash_attn_tileILi192ELi128ELi1ELi8ELb1EEvPKcS1_S1_S1_S1_PKiPfP15HIP_vector_typeIfLj2EEffffjfiS5_IjLj3EEiiiiiiiiiiiliiliiiiil.numbered_sgpr, 40
	.set _ZL15flash_attn_tileILi192ELi128ELi1ELi8ELb1EEvPKcS1_S1_S1_S1_PKiPfP15HIP_vector_typeIfLj2EEffffjfiS5_IjLj3EEiiiiiiiiiiiliiliiiiil.num_named_barrier, 0
	.set _ZL15flash_attn_tileILi192ELi128ELi1ELi8ELb1EEvPKcS1_S1_S1_S1_PKiPfP15HIP_vector_typeIfLj2EEffffjfiS5_IjLj3EEiiiiiiiiiiiliiliiiiil.private_seg_size, 0
	.set _ZL15flash_attn_tileILi192ELi128ELi1ELi8ELb1EEvPKcS1_S1_S1_S1_PKiPfP15HIP_vector_typeIfLj2EEffffjfiS5_IjLj3EEiiiiiiiiiiiliiliiiiil.uses_vcc, 1
	.set _ZL15flash_attn_tileILi192ELi128ELi1ELi8ELb1EEvPKcS1_S1_S1_S1_PKiPfP15HIP_vector_typeIfLj2EEffffjfiS5_IjLj3EEiiiiiiiiiiiliiliiiiil.uses_flat_scratch, 0
	.set _ZL15flash_attn_tileILi192ELi128ELi1ELi8ELb1EEvPKcS1_S1_S1_S1_PKiPfP15HIP_vector_typeIfLj2EEffffjfiS5_IjLj3EEiiiiiiiiiiiliiliiiiil.has_dyn_sized_stack, 0
	.set _ZL15flash_attn_tileILi192ELi128ELi1ELi8ELb1EEvPKcS1_S1_S1_S1_PKiPfP15HIP_vector_typeIfLj2EEffffjfiS5_IjLj3EEiiiiiiiiiiiliiliiiiil.has_recursion, 0
	.set _ZL15flash_attn_tileILi192ELi128ELi1ELi8ELb1EEvPKcS1_S1_S1_S1_PKiPfP15HIP_vector_typeIfLj2EEffffjfiS5_IjLj3EEiiiiiiiiiiiliiliiiiil.has_indirect_call, 0
	.section	.AMDGPU.csdata,"",@progbits
; Kernel info:
; codeLenInByte = 10128
; TotalNumSgprs: 46
; NumVgprs: 94
; NumAgprs: 0
; TotalNumVgprs: 94
; ScratchSize: 0
; MemoryBound: 0
; FloatMode: 240
; IeeeMode: 1
; LDSByteSize: 13312 bytes/workgroup (compile time only)
; SGPRBlocks: 5
; VGPRBlocks: 11
; NumSGPRsForWavesPerEU: 46
; NumVGPRsForWavesPerEU: 94
; AccumOffset: 96
; Occupancy: 5
; WaveLimiterHint : 1
; COMPUTE_PGM_RSRC2:SCRATCH_EN: 0
; COMPUTE_PGM_RSRC2:USER_SGPR: 2
; COMPUTE_PGM_RSRC2:TRAP_HANDLER: 0
; COMPUTE_PGM_RSRC2:TGID_X_EN: 1
; COMPUTE_PGM_RSRC2:TGID_Y_EN: 1
; COMPUTE_PGM_RSRC2:TGID_Z_EN: 1
; COMPUTE_PGM_RSRC2:TIDIG_COMP_CNT: 1
; COMPUTE_PGM_RSRC3_GFX90A:ACCUM_OFFSET: 23
; COMPUTE_PGM_RSRC3_GFX90A:TG_SPLIT: 0
	.section	.AMDGPU.gpr_maximums,"",@progbits
	.set amdgpu.max_num_vgpr, 0
	.set amdgpu.max_num_agpr, 0
	.set amdgpu.max_num_sgpr, 0
	.section	.AMDGPU.csdata,"",@progbits
	.type	__hip_cuid_4e94a2109e91b053,@object ; @__hip_cuid_4e94a2109e91b053
	.section	.bss,"aw",@nobits
	.globl	__hip_cuid_4e94a2109e91b053
__hip_cuid_4e94a2109e91b053:
	.byte	0                               ; 0x0
	.size	__hip_cuid_4e94a2109e91b053, 1

	.ident	"AMD clang version 22.0.0git (https://github.com/RadeonOpenCompute/llvm-project roc-7.2.4 26084 f58b06dce1f9c15707c5f808fd002e18c2accf7e)"
	.section	".note.GNU-stack","",@progbits
	.addrsig
	.addrsig_sym __hip_cuid_4e94a2109e91b053
	.amdgpu_metadata
---
amdhsa.kernels:
  - .agpr_count:     0
    .args:
      - .address_space:  global
        .offset:         0
        .size:           8
        .value_kind:     global_buffer
      - .address_space:  global
        .offset:         8
        .size:           8
        .value_kind:     global_buffer
      - .address_space:  global
        .offset:         16
        .size:           8
        .value_kind:     global_buffer
      - .address_space:  global
        .offset:         24
        .size:           8
        .value_kind:     global_buffer
      - .address_space:  global
        .offset:         32
        .size:           8
        .value_kind:     global_buffer
      - .address_space:  global
        .offset:         40
        .size:           8
        .value_kind:     global_buffer
      - .address_space:  global
        .offset:         48
        .size:           8
        .value_kind:     global_buffer
      - .address_space:  global
        .offset:         56
        .size:           8
        .value_kind:     global_buffer
      - .offset:         64
        .size:           4
        .value_kind:     by_value
      - .offset:         68
        .size:           4
        .value_kind:     by_value
      - .offset:         72
        .size:           4
        .value_kind:     by_value
      - .offset:         76
        .size:           4
        .value_kind:     by_value
      - .offset:         80
        .size:           4
        .value_kind:     by_value
      - .offset:         84
        .size:           4
        .value_kind:     by_value
      - .offset:         88
        .size:           4
        .value_kind:     by_value
      - .offset:         92
        .size:           12
        .value_kind:     by_value
      - .offset:         104
        .size:           4
        .value_kind:     by_value
      - .offset:         108
        .size:           4
        .value_kind:     by_value
      - .offset:         112
        .size:           4
        .value_kind:     by_value
      - .offset:         116
        .size:           4
        .value_kind:     by_value
      - .offset:         120
        .size:           4
        .value_kind:     by_value
      - .offset:         124
        .size:           4
        .value_kind:     by_value
      - .offset:         128
        .size:           4
        .value_kind:     by_value
      - .offset:         132
        .size:           4
        .value_kind:     by_value
      - .offset:         136
        .size:           4
        .value_kind:     by_value
      - .offset:         140
        .size:           4
        .value_kind:     by_value
      - .offset:         144
        .size:           4
        .value_kind:     by_value
      - .offset:         152
        .size:           8
        .value_kind:     by_value
      - .offset:         160
        .size:           4
        .value_kind:     by_value
      - .offset:         164
        .size:           4
        .value_kind:     by_value
      - .offset:         168
        .size:           8
        .value_kind:     by_value
      - .offset:         176
        .size:           4
        .value_kind:     by_value
      - .offset:         180
        .size:           4
        .value_kind:     by_value
      - .offset:         184
        .size:           4
        .value_kind:     by_value
      - .offset:         188
        .size:           4
        .value_kind:     by_value
      - .offset:         192
        .size:           4
        .value_kind:     by_value
      - .offset:         200
        .size:           8
        .value_kind:     by_value
      - .offset:         208
        .size:           4
        .value_kind:     hidden_block_count_x
      - .offset:         212
        .size:           4
        .value_kind:     hidden_block_count_y
      - .offset:         216
        .size:           4
        .value_kind:     hidden_block_count_z
      - .offset:         220
        .size:           2
        .value_kind:     hidden_group_size_x
      - .offset:         222
        .size:           2
        .value_kind:     hidden_group_size_y
      - .offset:         224
        .size:           2
        .value_kind:     hidden_group_size_z
      - .offset:         226
        .size:           2
        .value_kind:     hidden_remainder_x
      - .offset:         228
        .size:           2
        .value_kind:     hidden_remainder_y
      - .offset:         230
        .size:           2
        .value_kind:     hidden_remainder_z
      - .offset:         248
        .size:           8
        .value_kind:     hidden_global_offset_x
      - .offset:         256
        .size:           8
        .value_kind:     hidden_global_offset_y
      - .offset:         264
        .size:           8
        .value_kind:     hidden_global_offset_z
      - .offset:         272
        .size:           2
        .value_kind:     hidden_grid_dims
    .group_segment_fixed_size: 18944
    .kernarg_segment_align: 8
    .kernarg_segment_size: 464
    .language:       OpenCL C
    .language_version:
      - 2
      - 0
    .max_flat_workgroup_size: 256
    .name:           _ZL15flash_attn_tileILi192ELi128ELi2ELi16ELb0EEvPKcS1_S1_S1_S1_PKiPfP15HIP_vector_typeIfLj2EEffffjfiS5_IjLj3EEiiiiiiiiiiiliiliiiiil
    .private_segment_fixed_size: 0
    .sgpr_count:     54
    .sgpr_spill_count: 0
    .symbol:         _ZL15flash_attn_tileILi192ELi128ELi2ELi16ELb0EEvPKcS1_S1_S1_S1_PKiPfP15HIP_vector_typeIfLj2EEffffjfiS5_IjLj3EEiiiiiiiiiiiliiliiiiil.kd
    .uniform_work_group_size: 1
    .uses_dynamic_stack: false
    .vgpr_count:     85
    .vgpr_spill_count: 0
    .wavefront_size: 64
  - .agpr_count:     0
    .args:
      - .actual_access:  read_only
        .address_space:  global
        .offset:         0
        .size:           8
        .value_kind:     global_buffer
      - .actual_access:  write_only
        .address_space:  global
        .offset:         8
        .size:           8
        .value_kind:     global_buffer
      - .offset:         16
        .size:           4
        .value_kind:     by_value
      - .offset:         20
        .size:           4
        .value_kind:     by_value
      - .offset:         24
        .size:           4
        .value_kind:     by_value
      - .offset:         32
        .size:           4
        .value_kind:     hidden_block_count_x
      - .offset:         36
        .size:           4
        .value_kind:     hidden_block_count_y
      - .offset:         40
        .size:           4
        .value_kind:     hidden_block_count_z
      - .offset:         44
        .size:           2
        .value_kind:     hidden_group_size_x
      - .offset:         46
        .size:           2
        .value_kind:     hidden_group_size_y
      - .offset:         48
        .size:           2
        .value_kind:     hidden_group_size_z
      - .offset:         50
        .size:           2
        .value_kind:     hidden_remainder_x
      - .offset:         52
        .size:           2
        .value_kind:     hidden_remainder_y
      - .offset:         54
        .size:           2
        .value_kind:     hidden_remainder_z
      - .offset:         72
        .size:           8
        .value_kind:     hidden_global_offset_x
      - .offset:         80
        .size:           8
        .value_kind:     hidden_global_offset_y
      - .offset:         88
        .size:           8
        .value_kind:     hidden_global_offset_z
      - .offset:         96
        .size:           2
        .value_kind:     hidden_grid_dims
    .group_segment_fixed_size: 128
    .kernarg_segment_align: 8
    .kernarg_segment_size: 288
    .language:       OpenCL C
    .language_version:
      - 2
      - 0
    .max_flat_workgroup_size: 128
    .name:           _ZL25flash_attn_mask_to_KV_maxILi2EEvPK7__half2Piiii
    .private_segment_fixed_size: 0
    .sgpr_count:     28
    .sgpr_spill_count: 0
    .symbol:         _ZL25flash_attn_mask_to_KV_maxILi2EEvPK7__half2Piiii.kd
    .uniform_work_group_size: 1
    .uses_dynamic_stack: false
    .vgpr_count:     17
    .vgpr_spill_count: 0
    .wavefront_size: 64
  - .agpr_count:     0
    .args:
      - .address_space:  global
        .offset:         0
        .size:           8
        .value_kind:     global_buffer
      - .address_space:  global
        .offset:         8
        .size:           8
        .value_kind:     global_buffer
      - .offset:         16
        .size:           4
        .value_kind:     by_value
      - .offset:         20
        .size:           4
        .value_kind:     by_value
      - .offset:         24
        .size:           4
        .value_kind:     by_value
      - .offset:         28
        .size:           4
        .value_kind:     by_value
      - .offset:         32
        .size:           4
        .value_kind:     by_value
      - .offset:         36
        .size:           4
        .value_kind:     by_value
      - .offset:         40
        .size:           12
        .value_kind:     by_value
      - .offset:         52
        .size:           12
        .value_kind:     by_value
      - .offset:         64
        .size:           12
        .value_kind:     by_value
    .group_segment_fixed_size: 0
    .kernarg_segment_align: 8
    .kernarg_segment_size: 76
    .language:       OpenCL C
    .language_version:
      - 2
      - 0
    .max_flat_workgroup_size: 128
    .name:           _ZL33flash_attn_stream_k_fixup_uniformILi128ELi2ELi16EEvPfPK15HIP_vector_typeIfLj2EEiiiiiiS1_IjLj3EES5_S5_
    .private_segment_fixed_size: 0
    .sgpr_count:     30
    .sgpr_spill_count: 0
    .symbol:         _ZL33flash_attn_stream_k_fixup_uniformILi128ELi2ELi16EEvPfPK15HIP_vector_typeIfLj2EEiiiiiiS1_IjLj3EES5_S5_.kd
    .uniform_work_group_size: 1
    .uses_dynamic_stack: false
    .vgpr_count:     17
    .vgpr_spill_count: 0
    .wavefront_size: 64
  - .agpr_count:     0
    .args:
      - .address_space:  global
        .offset:         0
        .size:           8
        .value_kind:     global_buffer
      - .address_space:  global
        .offset:         8
        .size:           8
        .value_kind:     global_buffer
      - .offset:         16
        .size:           4
        .value_kind:     by_value
      - .offset:         20
        .size:           4
        .value_kind:     by_value
      - .offset:         24
        .size:           4
        .value_kind:     by_value
      - .offset:         28
        .size:           4
        .value_kind:     by_value
      - .offset:         32
        .size:           12
        .value_kind:     by_value
      - .offset:         44
        .size:           12
        .value_kind:     by_value
      - .offset:         56
        .size:           12
        .value_kind:     by_value
      - .offset:         68
        .size:           12
        .value_kind:     by_value
      - .offset:         80
        .size:           4
        .value_kind:     hidden_block_count_x
      - .offset:         84
        .size:           4
        .value_kind:     hidden_block_count_y
      - .offset:         88
        .size:           4
        .value_kind:     hidden_block_count_z
      - .offset:         92
        .size:           2
        .value_kind:     hidden_group_size_x
      - .offset:         94
        .size:           2
        .value_kind:     hidden_group_size_y
      - .offset:         96
        .size:           2
        .value_kind:     hidden_group_size_z
      - .offset:         98
        .size:           2
        .value_kind:     hidden_remainder_x
      - .offset:         100
        .size:           2
        .value_kind:     hidden_remainder_y
      - .offset:         102
        .size:           2
        .value_kind:     hidden_remainder_z
      - .offset:         120
        .size:           8
        .value_kind:     hidden_global_offset_x
      - .offset:         128
        .size:           8
        .value_kind:     hidden_global_offset_y
      - .offset:         136
        .size:           8
        .value_kind:     hidden_global_offset_z
      - .offset:         144
        .size:           2
        .value_kind:     hidden_grid_dims
    .group_segment_fixed_size: 0
    .kernarg_segment_align: 8
    .kernarg_segment_size: 336
    .language:       OpenCL C
    .language_version:
      - 2
      - 0
    .max_flat_workgroup_size: 128
    .name:           _ZL33flash_attn_stream_k_fixup_generalILi128ELi2ELi16EEvPfPK15HIP_vector_typeIfLj2EEiiiiS1_IjLj3EES5_S5_S5_
    .private_segment_fixed_size: 0
    .sgpr_count:     42
    .sgpr_spill_count: 0
    .symbol:         _ZL33flash_attn_stream_k_fixup_generalILi128ELi2ELi16EEvPfPK15HIP_vector_typeIfLj2EEiiiiS1_IjLj3EES5_S5_S5_.kd
    .uniform_work_group_size: 1
    .uses_dynamic_stack: false
    .vgpr_count:     18
    .vgpr_spill_count: 0
    .wavefront_size: 64
  - .agpr_count:     0
    .args:
      - .address_space:  global
        .offset:         0
        .size:           8
        .value_kind:     global_buffer
      - .address_space:  global
        .offset:         8
        .size:           8
        .value_kind:     global_buffer
      - .address_space:  global
        .offset:         16
        .size:           8
        .value_kind:     global_buffer
      - .offset:         24
        .size:           4
        .value_kind:     by_value
      - .offset:         32
        .size:           4
        .value_kind:     hidden_block_count_x
      - .offset:         36
        .size:           4
        .value_kind:     hidden_block_count_y
      - .offset:         40
        .size:           4
        .value_kind:     hidden_block_count_z
      - .offset:         44
        .size:           2
        .value_kind:     hidden_group_size_x
      - .offset:         46
        .size:           2
        .value_kind:     hidden_group_size_y
      - .offset:         48
        .size:           2
        .value_kind:     hidden_group_size_z
      - .offset:         50
        .size:           2
        .value_kind:     hidden_remainder_x
      - .offset:         52
        .size:           2
        .value_kind:     hidden_remainder_y
      - .offset:         54
        .size:           2
        .value_kind:     hidden_remainder_z
      - .offset:         72
        .size:           8
        .value_kind:     hidden_global_offset_x
      - .offset:         80
        .size:           8
        .value_kind:     hidden_global_offset_y
      - .offset:         88
        .size:           8
        .value_kind:     hidden_global_offset_z
      - .offset:         96
        .size:           2
        .value_kind:     hidden_grid_dims
      - .offset:         152
        .size:           4
        .value_kind:     hidden_dynamic_lds_size
    .group_segment_fixed_size: 0
    .kernarg_segment_align: 8
    .kernarg_segment_size: 288
    .language:       OpenCL C
    .language_version:
      - 2
      - 0
    .max_flat_workgroup_size: 128
    .name:           _ZL26flash_attn_combine_resultsILi128EEvPKfPK15HIP_vector_typeIfLj2EEPfi
    .private_segment_fixed_size: 0
    .sgpr_count:     32
    .sgpr_spill_count: 0
    .symbol:         _ZL26flash_attn_combine_resultsILi128EEvPKfPK15HIP_vector_typeIfLj2EEPfi.kd
    .uniform_work_group_size: 1
    .uses_dynamic_stack: false
    .vgpr_count:     59
    .vgpr_spill_count: 0
    .wavefront_size: 64
  - .agpr_count:     0
    .args:
      - .address_space:  global
        .offset:         0
        .size:           8
        .value_kind:     global_buffer
      - .address_space:  global
        .offset:         8
        .size:           8
        .value_kind:     global_buffer
      - .address_space:  global
        .offset:         16
        .size:           8
        .value_kind:     global_buffer
      - .address_space:  global
        .offset:         24
        .size:           8
        .value_kind:     global_buffer
      - .address_space:  global
        .offset:         32
        .size:           8
        .value_kind:     global_buffer
      - .address_space:  global
        .offset:         40
        .size:           8
        .value_kind:     global_buffer
      - .address_space:  global
        .offset:         48
        .size:           8
        .value_kind:     global_buffer
      - .address_space:  global
        .offset:         56
        .size:           8
        .value_kind:     global_buffer
      - .offset:         64
        .size:           4
        .value_kind:     by_value
      - .offset:         68
        .size:           4
        .value_kind:     by_value
      - .offset:         72
        .size:           4
        .value_kind:     by_value
      - .offset:         76
        .size:           4
        .value_kind:     by_value
      - .offset:         80
        .size:           4
        .value_kind:     by_value
      - .offset:         84
        .size:           4
        .value_kind:     by_value
      - .offset:         88
        .size:           4
        .value_kind:     by_value
      - .offset:         92
        .size:           12
        .value_kind:     by_value
      - .offset:         104
        .size:           4
        .value_kind:     by_value
      - .offset:         108
        .size:           4
        .value_kind:     by_value
      - .offset:         112
        .size:           4
        .value_kind:     by_value
      - .offset:         116
        .size:           4
        .value_kind:     by_value
      - .offset:         120
        .size:           4
        .value_kind:     by_value
      - .offset:         124
        .size:           4
        .value_kind:     by_value
      - .offset:         128
        .size:           4
        .value_kind:     by_value
      - .offset:         132
        .size:           4
        .value_kind:     by_value
      - .offset:         136
        .size:           4
        .value_kind:     by_value
      - .offset:         140
        .size:           4
        .value_kind:     by_value
      - .offset:         144
        .size:           4
        .value_kind:     by_value
      - .offset:         152
        .size:           8
        .value_kind:     by_value
      - .offset:         160
        .size:           4
        .value_kind:     by_value
      - .offset:         164
        .size:           4
        .value_kind:     by_value
      - .offset:         168
        .size:           8
        .value_kind:     by_value
      - .offset:         176
        .size:           4
        .value_kind:     by_value
      - .offset:         180
        .size:           4
        .value_kind:     by_value
      - .offset:         184
        .size:           4
        .value_kind:     by_value
      - .offset:         188
        .size:           4
        .value_kind:     by_value
      - .offset:         192
        .size:           4
        .value_kind:     by_value
      - .offset:         200
        .size:           8
        .value_kind:     by_value
      - .offset:         208
        .size:           4
        .value_kind:     hidden_block_count_x
      - .offset:         212
        .size:           4
        .value_kind:     hidden_block_count_y
      - .offset:         216
        .size:           4
        .value_kind:     hidden_block_count_z
      - .offset:         220
        .size:           2
        .value_kind:     hidden_group_size_x
      - .offset:         222
        .size:           2
        .value_kind:     hidden_group_size_y
      - .offset:         224
        .size:           2
        .value_kind:     hidden_group_size_z
      - .offset:         226
        .size:           2
        .value_kind:     hidden_remainder_x
      - .offset:         228
        .size:           2
        .value_kind:     hidden_remainder_y
      - .offset:         230
        .size:           2
        .value_kind:     hidden_remainder_z
      - .offset:         248
        .size:           8
        .value_kind:     hidden_global_offset_x
      - .offset:         256
        .size:           8
        .value_kind:     hidden_global_offset_y
      - .offset:         264
        .size:           8
        .value_kind:     hidden_global_offset_z
      - .offset:         272
        .size:           2
        .value_kind:     hidden_grid_dims
    .group_segment_fixed_size: 11776
    .kernarg_segment_align: 8
    .kernarg_segment_size: 464
    .language:       OpenCL C
    .language_version:
      - 2
      - 0
    .max_flat_workgroup_size: 256
    .name:           _ZL15flash_attn_tileILi192ELi128ELi1ELi16ELb0EEvPKcS1_S1_S1_S1_PKiPfP15HIP_vector_typeIfLj2EEffffjfiS5_IjLj3EEiiiiiiiiiiiliiliiiiil
    .private_segment_fixed_size: 0
    .sgpr_count:     54
    .sgpr_spill_count: 0
    .symbol:         _ZL15flash_attn_tileILi192ELi128ELi1ELi16ELb0EEvPKcS1_S1_S1_S1_PKiPfP15HIP_vector_typeIfLj2EEffffjfiS5_IjLj3EEiiiiiiiiiiiliiliiiiil.kd
    .uniform_work_group_size: 1
    .uses_dynamic_stack: false
    .vgpr_count:     64
    .vgpr_spill_count: 0
    .wavefront_size: 64
  - .agpr_count:     0
    .args:
      - .actual_access:  read_only
        .address_space:  global
        .offset:         0
        .size:           8
        .value_kind:     global_buffer
      - .actual_access:  write_only
        .address_space:  global
        .offset:         8
        .size:           8
        .value_kind:     global_buffer
      - .offset:         16
        .size:           4
        .value_kind:     by_value
      - .offset:         20
        .size:           4
        .value_kind:     by_value
      - .offset:         24
        .size:           4
        .value_kind:     by_value
      - .offset:         32
        .size:           4
        .value_kind:     hidden_block_count_x
      - .offset:         36
        .size:           4
        .value_kind:     hidden_block_count_y
      - .offset:         40
        .size:           4
        .value_kind:     hidden_block_count_z
      - .offset:         44
        .size:           2
        .value_kind:     hidden_group_size_x
      - .offset:         46
        .size:           2
        .value_kind:     hidden_group_size_y
      - .offset:         48
        .size:           2
        .value_kind:     hidden_group_size_z
      - .offset:         50
        .size:           2
        .value_kind:     hidden_remainder_x
      - .offset:         52
        .size:           2
        .value_kind:     hidden_remainder_y
      - .offset:         54
        .size:           2
        .value_kind:     hidden_remainder_z
      - .offset:         72
        .size:           8
        .value_kind:     hidden_global_offset_x
      - .offset:         80
        .size:           8
        .value_kind:     hidden_global_offset_y
      - .offset:         88
        .size:           8
        .value_kind:     hidden_global_offset_z
      - .offset:         96
        .size:           2
        .value_kind:     hidden_grid_dims
    .group_segment_fixed_size: 128
    .kernarg_segment_align: 8
    .kernarg_segment_size: 288
    .language:       OpenCL C
    .language_version:
      - 2
      - 0
    .max_flat_workgroup_size: 128
    .name:           _ZL25flash_attn_mask_to_KV_maxILi1EEvPK7__half2Piiii
    .private_segment_fixed_size: 0
    .sgpr_count:     26
    .sgpr_spill_count: 0
    .symbol:         _ZL25flash_attn_mask_to_KV_maxILi1EEvPK7__half2Piiii.kd
    .uniform_work_group_size: 1
    .uses_dynamic_stack: false
    .vgpr_count:     17
    .vgpr_spill_count: 0
    .wavefront_size: 64
  - .agpr_count:     0
    .args:
      - .address_space:  global
        .offset:         0
        .size:           8
        .value_kind:     global_buffer
      - .address_space:  global
        .offset:         8
        .size:           8
        .value_kind:     global_buffer
      - .offset:         16
        .size:           4
        .value_kind:     by_value
      - .offset:         20
        .size:           4
        .value_kind:     by_value
      - .offset:         24
        .size:           4
        .value_kind:     by_value
      - .offset:         28
        .size:           4
        .value_kind:     by_value
      - .offset:         32
        .size:           4
        .value_kind:     by_value
      - .offset:         36
        .size:           4
        .value_kind:     by_value
      - .offset:         40
        .size:           12
        .value_kind:     by_value
      - .offset:         52
        .size:           12
        .value_kind:     by_value
      - .offset:         64
        .size:           12
        .value_kind:     by_value
    .group_segment_fixed_size: 0
    .kernarg_segment_align: 8
    .kernarg_segment_size: 76
    .language:       OpenCL C
    .language_version:
      - 2
      - 0
    .max_flat_workgroup_size: 128
    .name:           _ZL33flash_attn_stream_k_fixup_uniformILi128ELi1ELi16EEvPfPK15HIP_vector_typeIfLj2EEiiiiiiS1_IjLj3EES5_S5_
    .private_segment_fixed_size: 0
    .sgpr_count:     26
    .sgpr_spill_count: 0
    .symbol:         _ZL33flash_attn_stream_k_fixup_uniformILi128ELi1ELi16EEvPfPK15HIP_vector_typeIfLj2EEiiiiiiS1_IjLj3EES5_S5_.kd
    .uniform_work_group_size: 1
    .uses_dynamic_stack: false
    .vgpr_count:     17
    .vgpr_spill_count: 0
    .wavefront_size: 64
  - .agpr_count:     0
    .args:
      - .address_space:  global
        .offset:         0
        .size:           8
        .value_kind:     global_buffer
      - .address_space:  global
        .offset:         8
        .size:           8
        .value_kind:     global_buffer
      - .offset:         16
        .size:           4
        .value_kind:     by_value
      - .offset:         20
        .size:           4
        .value_kind:     by_value
      - .offset:         24
        .size:           4
        .value_kind:     by_value
      - .offset:         28
        .size:           4
        .value_kind:     by_value
      - .offset:         32
        .size:           12
        .value_kind:     by_value
      - .offset:         44
        .size:           12
        .value_kind:     by_value
      - .offset:         56
        .size:           12
        .value_kind:     by_value
      - .offset:         68
        .size:           12
        .value_kind:     by_value
      - .offset:         80
        .size:           4
        .value_kind:     hidden_block_count_x
      - .offset:         84
        .size:           4
        .value_kind:     hidden_block_count_y
      - .offset:         88
        .size:           4
        .value_kind:     hidden_block_count_z
      - .offset:         92
        .size:           2
        .value_kind:     hidden_group_size_x
      - .offset:         94
        .size:           2
        .value_kind:     hidden_group_size_y
      - .offset:         96
        .size:           2
        .value_kind:     hidden_group_size_z
      - .offset:         98
        .size:           2
        .value_kind:     hidden_remainder_x
      - .offset:         100
        .size:           2
        .value_kind:     hidden_remainder_y
      - .offset:         102
        .size:           2
        .value_kind:     hidden_remainder_z
      - .offset:         120
        .size:           8
        .value_kind:     hidden_global_offset_x
      - .offset:         128
        .size:           8
        .value_kind:     hidden_global_offset_y
      - .offset:         136
        .size:           8
        .value_kind:     hidden_global_offset_z
      - .offset:         144
        .size:           2
        .value_kind:     hidden_grid_dims
    .group_segment_fixed_size: 0
    .kernarg_segment_align: 8
    .kernarg_segment_size: 336
    .language:       OpenCL C
    .language_version:
      - 2
      - 0
    .max_flat_workgroup_size: 128
    .name:           _ZL33flash_attn_stream_k_fixup_generalILi128ELi1ELi16EEvPfPK15HIP_vector_typeIfLj2EEiiiiS1_IjLj3EES5_S5_S5_
    .private_segment_fixed_size: 0
    .sgpr_count:     43
    .sgpr_spill_count: 0
    .symbol:         _ZL33flash_attn_stream_k_fixup_generalILi128ELi1ELi16EEvPfPK15HIP_vector_typeIfLj2EEiiiiS1_IjLj3EES5_S5_S5_.kd
    .uniform_work_group_size: 1
    .uses_dynamic_stack: false
    .vgpr_count:     18
    .vgpr_spill_count: 0
    .wavefront_size: 64
  - .agpr_count:     0
    .args:
      - .address_space:  global
        .offset:         0
        .size:           8
        .value_kind:     global_buffer
      - .address_space:  global
        .offset:         8
        .size:           8
        .value_kind:     global_buffer
      - .address_space:  global
        .offset:         16
        .size:           8
        .value_kind:     global_buffer
      - .address_space:  global
        .offset:         24
        .size:           8
        .value_kind:     global_buffer
      - .address_space:  global
        .offset:         32
        .size:           8
        .value_kind:     global_buffer
      - .address_space:  global
        .offset:         40
        .size:           8
        .value_kind:     global_buffer
      - .address_space:  global
        .offset:         48
        .size:           8
        .value_kind:     global_buffer
      - .address_space:  global
        .offset:         56
        .size:           8
        .value_kind:     global_buffer
      - .offset:         64
        .size:           4
        .value_kind:     by_value
      - .offset:         68
        .size:           4
        .value_kind:     by_value
      - .offset:         72
        .size:           4
        .value_kind:     by_value
      - .offset:         76
        .size:           4
        .value_kind:     by_value
      - .offset:         80
        .size:           4
        .value_kind:     by_value
      - .offset:         84
        .size:           4
        .value_kind:     by_value
      - .offset:         88
        .size:           4
        .value_kind:     by_value
      - .offset:         92
        .size:           12
        .value_kind:     by_value
      - .offset:         104
        .size:           4
        .value_kind:     by_value
      - .offset:         108
        .size:           4
        .value_kind:     by_value
      - .offset:         112
        .size:           4
        .value_kind:     by_value
      - .offset:         116
        .size:           4
        .value_kind:     by_value
      - .offset:         120
        .size:           4
        .value_kind:     by_value
      - .offset:         124
        .size:           4
        .value_kind:     by_value
      - .offset:         128
        .size:           4
        .value_kind:     by_value
      - .offset:         132
        .size:           4
        .value_kind:     by_value
      - .offset:         136
        .size:           4
        .value_kind:     by_value
      - .offset:         140
        .size:           4
        .value_kind:     by_value
      - .offset:         144
        .size:           4
        .value_kind:     by_value
      - .offset:         152
        .size:           8
        .value_kind:     by_value
      - .offset:         160
        .size:           4
        .value_kind:     by_value
      - .offset:         164
        .size:           4
        .value_kind:     by_value
      - .offset:         168
        .size:           8
        .value_kind:     by_value
      - .offset:         176
        .size:           4
        .value_kind:     by_value
      - .offset:         180
        .size:           4
        .value_kind:     by_value
      - .offset:         184
        .size:           4
        .value_kind:     by_value
      - .offset:         188
        .size:           4
        .value_kind:     by_value
      - .offset:         192
        .size:           4
        .value_kind:     by_value
      - .offset:         200
        .size:           8
        .value_kind:     by_value
      - .offset:         208
        .size:           4
        .value_kind:     hidden_block_count_x
      - .offset:         212
        .size:           4
        .value_kind:     hidden_block_count_y
      - .offset:         216
        .size:           4
        .value_kind:     hidden_block_count_z
      - .offset:         220
        .size:           2
        .value_kind:     hidden_group_size_x
      - .offset:         222
        .size:           2
        .value_kind:     hidden_group_size_y
      - .offset:         224
        .size:           2
        .value_kind:     hidden_group_size_z
      - .offset:         226
        .size:           2
        .value_kind:     hidden_remainder_x
      - .offset:         228
        .size:           2
        .value_kind:     hidden_remainder_y
      - .offset:         230
        .size:           2
        .value_kind:     hidden_remainder_z
      - .offset:         248
        .size:           8
        .value_kind:     hidden_global_offset_x
      - .offset:         256
        .size:           8
        .value_kind:     hidden_global_offset_y
      - .offset:         264
        .size:           8
        .value_kind:     hidden_global_offset_z
      - .offset:         272
        .size:           2
        .value_kind:     hidden_grid_dims
    .group_segment_fixed_size: 18944
    .kernarg_segment_align: 8
    .kernarg_segment_size: 464
    .language:       OpenCL C
    .language_version:
      - 2
      - 0
    .max_flat_workgroup_size: 256
    .name:           _ZL15flash_attn_tileILi192ELi128ELi4ELi8ELb0EEvPKcS1_S1_S1_S1_PKiPfP15HIP_vector_typeIfLj2EEffffjfiS5_IjLj3EEiiiiiiiiiiiliiliiiiil
    .private_segment_fixed_size: 0
    .sgpr_count:     54
    .sgpr_spill_count: 0
    .symbol:         _ZL15flash_attn_tileILi192ELi128ELi4ELi8ELb0EEvPKcS1_S1_S1_S1_PKiPfP15HIP_vector_typeIfLj2EEffffjfiS5_IjLj3EEiiiiiiiiiiiliiliiiiil.kd
    .uniform_work_group_size: 1
    .uses_dynamic_stack: false
    .vgpr_count:     85
    .vgpr_spill_count: 0
    .wavefront_size: 64
  - .agpr_count:     0
    .args:
      - .actual_access:  read_only
        .address_space:  global
        .offset:         0
        .size:           8
        .value_kind:     global_buffer
      - .actual_access:  write_only
        .address_space:  global
        .offset:         8
        .size:           8
        .value_kind:     global_buffer
      - .offset:         16
        .size:           4
        .value_kind:     by_value
      - .offset:         20
        .size:           4
        .value_kind:     by_value
      - .offset:         24
        .size:           4
        .value_kind:     by_value
      - .offset:         32
        .size:           4
        .value_kind:     hidden_block_count_x
      - .offset:         36
        .size:           4
        .value_kind:     hidden_block_count_y
      - .offset:         40
        .size:           4
        .value_kind:     hidden_block_count_z
      - .offset:         44
        .size:           2
        .value_kind:     hidden_group_size_x
      - .offset:         46
        .size:           2
        .value_kind:     hidden_group_size_y
      - .offset:         48
        .size:           2
        .value_kind:     hidden_group_size_z
      - .offset:         50
        .size:           2
        .value_kind:     hidden_remainder_x
      - .offset:         52
        .size:           2
        .value_kind:     hidden_remainder_y
      - .offset:         54
        .size:           2
        .value_kind:     hidden_remainder_z
      - .offset:         72
        .size:           8
        .value_kind:     hidden_global_offset_x
      - .offset:         80
        .size:           8
        .value_kind:     hidden_global_offset_y
      - .offset:         88
        .size:           8
        .value_kind:     hidden_global_offset_z
      - .offset:         96
        .size:           2
        .value_kind:     hidden_grid_dims
    .group_segment_fixed_size: 128
    .kernarg_segment_align: 8
    .kernarg_segment_size: 288
    .language:       OpenCL C
    .language_version:
      - 2
      - 0
    .max_flat_workgroup_size: 128
    .name:           _ZL25flash_attn_mask_to_KV_maxILi4EEvPK7__half2Piiii
    .private_segment_fixed_size: 0
    .sgpr_count:     36
    .sgpr_spill_count: 0
    .symbol:         _ZL25flash_attn_mask_to_KV_maxILi4EEvPK7__half2Piiii.kd
    .uniform_work_group_size: 1
    .uses_dynamic_stack: false
    .vgpr_count:     17
    .vgpr_spill_count: 0
    .wavefront_size: 64
  - .agpr_count:     0
    .args:
      - .address_space:  global
        .offset:         0
        .size:           8
        .value_kind:     global_buffer
      - .address_space:  global
        .offset:         8
        .size:           8
        .value_kind:     global_buffer
      - .offset:         16
        .size:           4
        .value_kind:     by_value
      - .offset:         20
        .size:           4
        .value_kind:     by_value
      - .offset:         24
        .size:           4
        .value_kind:     by_value
      - .offset:         28
        .size:           4
        .value_kind:     by_value
      - .offset:         32
        .size:           4
        .value_kind:     by_value
      - .offset:         36
        .size:           4
        .value_kind:     by_value
      - .offset:         40
        .size:           12
        .value_kind:     by_value
      - .offset:         52
        .size:           12
        .value_kind:     by_value
      - .offset:         64
        .size:           12
        .value_kind:     by_value
    .group_segment_fixed_size: 0
    .kernarg_segment_align: 8
    .kernarg_segment_size: 76
    .language:       OpenCL C
    .language_version:
      - 2
      - 0
    .max_flat_workgroup_size: 128
    .name:           _ZL33flash_attn_stream_k_fixup_uniformILi128ELi4ELi8EEvPfPK15HIP_vector_typeIfLj2EEiiiiiiS1_IjLj3EES5_S5_
    .private_segment_fixed_size: 0
    .sgpr_count:     30
    .sgpr_spill_count: 0
    .symbol:         _ZL33flash_attn_stream_k_fixup_uniformILi128ELi4ELi8EEvPfPK15HIP_vector_typeIfLj2EEiiiiiiS1_IjLj3EES5_S5_.kd
    .uniform_work_group_size: 1
    .uses_dynamic_stack: false
    .vgpr_count:     17
    .vgpr_spill_count: 0
    .wavefront_size: 64
  - .agpr_count:     0
    .args:
      - .address_space:  global
        .offset:         0
        .size:           8
        .value_kind:     global_buffer
      - .address_space:  global
        .offset:         8
        .size:           8
        .value_kind:     global_buffer
      - .offset:         16
        .size:           4
        .value_kind:     by_value
      - .offset:         20
        .size:           4
        .value_kind:     by_value
      - .offset:         24
        .size:           4
        .value_kind:     by_value
      - .offset:         28
        .size:           4
        .value_kind:     by_value
      - .offset:         32
        .size:           12
        .value_kind:     by_value
      - .offset:         44
        .size:           12
        .value_kind:     by_value
      - .offset:         56
        .size:           12
        .value_kind:     by_value
      - .offset:         68
        .size:           12
        .value_kind:     by_value
      - .offset:         80
        .size:           4
        .value_kind:     hidden_block_count_x
      - .offset:         84
        .size:           4
        .value_kind:     hidden_block_count_y
      - .offset:         88
        .size:           4
        .value_kind:     hidden_block_count_z
      - .offset:         92
        .size:           2
        .value_kind:     hidden_group_size_x
      - .offset:         94
        .size:           2
        .value_kind:     hidden_group_size_y
      - .offset:         96
        .size:           2
        .value_kind:     hidden_group_size_z
      - .offset:         98
        .size:           2
        .value_kind:     hidden_remainder_x
      - .offset:         100
        .size:           2
        .value_kind:     hidden_remainder_y
      - .offset:         102
        .size:           2
        .value_kind:     hidden_remainder_z
      - .offset:         120
        .size:           8
        .value_kind:     hidden_global_offset_x
      - .offset:         128
        .size:           8
        .value_kind:     hidden_global_offset_y
      - .offset:         136
        .size:           8
        .value_kind:     hidden_global_offset_z
      - .offset:         144
        .size:           2
        .value_kind:     hidden_grid_dims
    .group_segment_fixed_size: 0
    .kernarg_segment_align: 8
    .kernarg_segment_size: 336
    .language:       OpenCL C
    .language_version:
      - 2
      - 0
    .max_flat_workgroup_size: 128
    .name:           _ZL33flash_attn_stream_k_fixup_generalILi128ELi4ELi8EEvPfPK15HIP_vector_typeIfLj2EEiiiiS1_IjLj3EES5_S5_S5_
    .private_segment_fixed_size: 0
    .sgpr_count:     42
    .sgpr_spill_count: 0
    .symbol:         _ZL33flash_attn_stream_k_fixup_generalILi128ELi4ELi8EEvPfPK15HIP_vector_typeIfLj2EEiiiiS1_IjLj3EES5_S5_S5_.kd
    .uniform_work_group_size: 1
    .uses_dynamic_stack: false
    .vgpr_count:     18
    .vgpr_spill_count: 0
    .wavefront_size: 64
  - .agpr_count:     0
    .args:
      - .address_space:  global
        .offset:         0
        .size:           8
        .value_kind:     global_buffer
      - .address_space:  global
        .offset:         8
        .size:           8
        .value_kind:     global_buffer
      - .address_space:  global
        .offset:         16
        .size:           8
        .value_kind:     global_buffer
      - .address_space:  global
        .offset:         24
        .size:           8
        .value_kind:     global_buffer
      - .address_space:  global
        .offset:         32
        .size:           8
        .value_kind:     global_buffer
      - .address_space:  global
        .offset:         40
        .size:           8
        .value_kind:     global_buffer
      - .address_space:  global
        .offset:         48
        .size:           8
        .value_kind:     global_buffer
      - .address_space:  global
        .offset:         56
        .size:           8
        .value_kind:     global_buffer
      - .offset:         64
        .size:           4
        .value_kind:     by_value
      - .offset:         68
        .size:           4
        .value_kind:     by_value
      - .offset:         72
        .size:           4
        .value_kind:     by_value
      - .offset:         76
        .size:           4
        .value_kind:     by_value
      - .offset:         80
        .size:           4
        .value_kind:     by_value
      - .offset:         84
        .size:           4
        .value_kind:     by_value
      - .offset:         88
        .size:           4
        .value_kind:     by_value
      - .offset:         92
        .size:           12
        .value_kind:     by_value
      - .offset:         104
        .size:           4
        .value_kind:     by_value
      - .offset:         108
        .size:           4
        .value_kind:     by_value
      - .offset:         112
        .size:           4
        .value_kind:     by_value
      - .offset:         116
        .size:           4
        .value_kind:     by_value
      - .offset:         120
        .size:           4
        .value_kind:     by_value
      - .offset:         124
        .size:           4
        .value_kind:     by_value
      - .offset:         128
        .size:           4
        .value_kind:     by_value
      - .offset:         132
        .size:           4
        .value_kind:     by_value
      - .offset:         136
        .size:           4
        .value_kind:     by_value
      - .offset:         140
        .size:           4
        .value_kind:     by_value
      - .offset:         144
        .size:           4
        .value_kind:     by_value
      - .offset:         152
        .size:           8
        .value_kind:     by_value
      - .offset:         160
        .size:           4
        .value_kind:     by_value
      - .offset:         164
        .size:           4
        .value_kind:     by_value
      - .offset:         168
        .size:           8
        .value_kind:     by_value
      - .offset:         176
        .size:           4
        .value_kind:     by_value
      - .offset:         180
        .size:           4
        .value_kind:     by_value
      - .offset:         184
        .size:           4
        .value_kind:     by_value
      - .offset:         188
        .size:           4
        .value_kind:     by_value
      - .offset:         192
        .size:           4
        .value_kind:     by_value
      - .offset:         200
        .size:           8
        .value_kind:     by_value
      - .offset:         208
        .size:           4
        .value_kind:     hidden_block_count_x
      - .offset:         212
        .size:           4
        .value_kind:     hidden_block_count_y
      - .offset:         216
        .size:           4
        .value_kind:     hidden_block_count_z
      - .offset:         220
        .size:           2
        .value_kind:     hidden_group_size_x
      - .offset:         222
        .size:           2
        .value_kind:     hidden_group_size_y
      - .offset:         224
        .size:           2
        .value_kind:     hidden_group_size_z
      - .offset:         226
        .size:           2
        .value_kind:     hidden_remainder_x
      - .offset:         228
        .size:           2
        .value_kind:     hidden_remainder_y
      - .offset:         230
        .size:           2
        .value_kind:     hidden_remainder_z
      - .offset:         248
        .size:           8
        .value_kind:     hidden_global_offset_x
      - .offset:         256
        .size:           8
        .value_kind:     hidden_global_offset_y
      - .offset:         264
        .size:           8
        .value_kind:     hidden_global_offset_z
      - .offset:         272
        .size:           2
        .value_kind:     hidden_grid_dims
    .group_segment_fixed_size: 11776
    .kernarg_segment_align: 8
    .kernarg_segment_size: 464
    .language:       OpenCL C
    .language_version:
      - 2
      - 0
    .max_flat_workgroup_size: 256
    .name:           _ZL15flash_attn_tileILi192ELi128ELi2ELi8ELb0EEvPKcS1_S1_S1_S1_PKiPfP15HIP_vector_typeIfLj2EEffffjfiS5_IjLj3EEiiiiiiiiiiiliiliiiiil
    .private_segment_fixed_size: 0
    .sgpr_count:     54
    .sgpr_spill_count: 0
    .symbol:         _ZL15flash_attn_tileILi192ELi128ELi2ELi8ELb0EEvPKcS1_S1_S1_S1_PKiPfP15HIP_vector_typeIfLj2EEffffjfiS5_IjLj3EEiiiiiiiiiiiliiliiiiil.kd
    .uniform_work_group_size: 1
    .uses_dynamic_stack: false
    .vgpr_count:     64
    .vgpr_spill_count: 0
    .wavefront_size: 64
  - .agpr_count:     0
    .args:
      - .address_space:  global
        .offset:         0
        .size:           8
        .value_kind:     global_buffer
      - .address_space:  global
        .offset:         8
        .size:           8
        .value_kind:     global_buffer
      - .offset:         16
        .size:           4
        .value_kind:     by_value
      - .offset:         20
        .size:           4
        .value_kind:     by_value
      - .offset:         24
        .size:           4
        .value_kind:     by_value
      - .offset:         28
        .size:           4
        .value_kind:     by_value
      - .offset:         32
        .size:           4
        .value_kind:     by_value
      - .offset:         36
        .size:           4
        .value_kind:     by_value
      - .offset:         40
        .size:           12
        .value_kind:     by_value
      - .offset:         52
        .size:           12
        .value_kind:     by_value
      - .offset:         64
        .size:           12
        .value_kind:     by_value
    .group_segment_fixed_size: 0
    .kernarg_segment_align: 8
    .kernarg_segment_size: 76
    .language:       OpenCL C
    .language_version:
      - 2
      - 0
    .max_flat_workgroup_size: 128
    .name:           _ZL33flash_attn_stream_k_fixup_uniformILi128ELi2ELi8EEvPfPK15HIP_vector_typeIfLj2EEiiiiiiS1_IjLj3EES5_S5_
    .private_segment_fixed_size: 0
    .sgpr_count:     30
    .sgpr_spill_count: 0
    .symbol:         _ZL33flash_attn_stream_k_fixup_uniformILi128ELi2ELi8EEvPfPK15HIP_vector_typeIfLj2EEiiiiiiS1_IjLj3EES5_S5_.kd
    .uniform_work_group_size: 1
    .uses_dynamic_stack: false
    .vgpr_count:     17
    .vgpr_spill_count: 0
    .wavefront_size: 64
  - .agpr_count:     0
    .args:
      - .address_space:  global
        .offset:         0
        .size:           8
        .value_kind:     global_buffer
      - .address_space:  global
        .offset:         8
        .size:           8
        .value_kind:     global_buffer
      - .offset:         16
        .size:           4
        .value_kind:     by_value
      - .offset:         20
        .size:           4
        .value_kind:     by_value
      - .offset:         24
        .size:           4
        .value_kind:     by_value
      - .offset:         28
        .size:           4
        .value_kind:     by_value
      - .offset:         32
        .size:           12
        .value_kind:     by_value
      - .offset:         44
        .size:           12
        .value_kind:     by_value
      - .offset:         56
        .size:           12
        .value_kind:     by_value
      - .offset:         68
        .size:           12
        .value_kind:     by_value
      - .offset:         80
        .size:           4
        .value_kind:     hidden_block_count_x
      - .offset:         84
        .size:           4
        .value_kind:     hidden_block_count_y
      - .offset:         88
        .size:           4
        .value_kind:     hidden_block_count_z
      - .offset:         92
        .size:           2
        .value_kind:     hidden_group_size_x
      - .offset:         94
        .size:           2
        .value_kind:     hidden_group_size_y
      - .offset:         96
        .size:           2
        .value_kind:     hidden_group_size_z
      - .offset:         98
        .size:           2
        .value_kind:     hidden_remainder_x
      - .offset:         100
        .size:           2
        .value_kind:     hidden_remainder_y
      - .offset:         102
        .size:           2
        .value_kind:     hidden_remainder_z
      - .offset:         120
        .size:           8
        .value_kind:     hidden_global_offset_x
      - .offset:         128
        .size:           8
        .value_kind:     hidden_global_offset_y
      - .offset:         136
        .size:           8
        .value_kind:     hidden_global_offset_z
      - .offset:         144
        .size:           2
        .value_kind:     hidden_grid_dims
    .group_segment_fixed_size: 0
    .kernarg_segment_align: 8
    .kernarg_segment_size: 336
    .language:       OpenCL C
    .language_version:
      - 2
      - 0
    .max_flat_workgroup_size: 128
    .name:           _ZL33flash_attn_stream_k_fixup_generalILi128ELi2ELi8EEvPfPK15HIP_vector_typeIfLj2EEiiiiS1_IjLj3EES5_S5_S5_
    .private_segment_fixed_size: 0
    .sgpr_count:     42
    .sgpr_spill_count: 0
    .symbol:         _ZL33flash_attn_stream_k_fixup_generalILi128ELi2ELi8EEvPfPK15HIP_vector_typeIfLj2EEiiiiS1_IjLj3EES5_S5_S5_.kd
    .uniform_work_group_size: 1
    .uses_dynamic_stack: false
    .vgpr_count:     18
    .vgpr_spill_count: 0
    .wavefront_size: 64
  - .agpr_count:     0
    .args:
      - .address_space:  global
        .offset:         0
        .size:           8
        .value_kind:     global_buffer
      - .address_space:  global
        .offset:         8
        .size:           8
        .value_kind:     global_buffer
      - .address_space:  global
        .offset:         16
        .size:           8
        .value_kind:     global_buffer
      - .address_space:  global
        .offset:         24
        .size:           8
        .value_kind:     global_buffer
      - .address_space:  global
        .offset:         32
        .size:           8
        .value_kind:     global_buffer
      - .address_space:  global
        .offset:         40
        .size:           8
        .value_kind:     global_buffer
      - .address_space:  global
        .offset:         48
        .size:           8
        .value_kind:     global_buffer
      - .address_space:  global
        .offset:         56
        .size:           8
        .value_kind:     global_buffer
      - .offset:         64
        .size:           4
        .value_kind:     by_value
      - .offset:         68
        .size:           4
        .value_kind:     by_value
      - .offset:         72
        .size:           4
        .value_kind:     by_value
      - .offset:         76
        .size:           4
        .value_kind:     by_value
      - .offset:         80
        .size:           4
        .value_kind:     by_value
      - .offset:         84
        .size:           4
        .value_kind:     by_value
      - .offset:         88
        .size:           4
        .value_kind:     by_value
      - .offset:         92
        .size:           12
        .value_kind:     by_value
      - .offset:         104
        .size:           4
        .value_kind:     by_value
      - .offset:         108
        .size:           4
        .value_kind:     by_value
      - .offset:         112
        .size:           4
        .value_kind:     by_value
      - .offset:         116
        .size:           4
        .value_kind:     by_value
      - .offset:         120
        .size:           4
        .value_kind:     by_value
      - .offset:         124
        .size:           4
        .value_kind:     by_value
      - .offset:         128
        .size:           4
        .value_kind:     by_value
      - .offset:         132
        .size:           4
        .value_kind:     by_value
      - .offset:         136
        .size:           4
        .value_kind:     by_value
      - .offset:         140
        .size:           4
        .value_kind:     by_value
      - .offset:         144
        .size:           4
        .value_kind:     by_value
      - .offset:         152
        .size:           8
        .value_kind:     by_value
      - .offset:         160
        .size:           4
        .value_kind:     by_value
      - .offset:         164
        .size:           4
        .value_kind:     by_value
      - .offset:         168
        .size:           8
        .value_kind:     by_value
      - .offset:         176
        .size:           4
        .value_kind:     by_value
      - .offset:         180
        .size:           4
        .value_kind:     by_value
      - .offset:         184
        .size:           4
        .value_kind:     by_value
      - .offset:         188
        .size:           4
        .value_kind:     by_value
      - .offset:         192
        .size:           4
        .value_kind:     by_value
      - .offset:         200
        .size:           8
        .value_kind:     by_value
      - .offset:         208
        .size:           4
        .value_kind:     hidden_block_count_x
      - .offset:         212
        .size:           4
        .value_kind:     hidden_block_count_y
      - .offset:         216
        .size:           4
        .value_kind:     hidden_block_count_z
      - .offset:         220
        .size:           2
        .value_kind:     hidden_group_size_x
      - .offset:         222
        .size:           2
        .value_kind:     hidden_group_size_y
      - .offset:         224
        .size:           2
        .value_kind:     hidden_group_size_z
      - .offset:         226
        .size:           2
        .value_kind:     hidden_remainder_x
      - .offset:         228
        .size:           2
        .value_kind:     hidden_remainder_y
      - .offset:         230
        .size:           2
        .value_kind:     hidden_remainder_z
      - .offset:         248
        .size:           8
        .value_kind:     hidden_global_offset_x
      - .offset:         256
        .size:           8
        .value_kind:     hidden_global_offset_y
      - .offset:         264
        .size:           8
        .value_kind:     hidden_global_offset_z
      - .offset:         272
        .size:           2
        .value_kind:     hidden_grid_dims
    .group_segment_fixed_size: 13312
    .kernarg_segment_align: 8
    .kernarg_segment_size: 464
    .language:       OpenCL C
    .language_version:
      - 2
      - 0
    .max_flat_workgroup_size: 256
    .name:           _ZL15flash_attn_tileILi192ELi128ELi1ELi8ELb0EEvPKcS1_S1_S1_S1_PKiPfP15HIP_vector_typeIfLj2EEffffjfiS5_IjLj3EEiiiiiiiiiiiliiliiiiil
    .private_segment_fixed_size: 0
    .sgpr_count:     45
    .sgpr_spill_count: 0
    .symbol:         _ZL15flash_attn_tileILi192ELi128ELi1ELi8ELb0EEvPKcS1_S1_S1_S1_PKiPfP15HIP_vector_typeIfLj2EEffffjfiS5_IjLj3EEiiiiiiiiiiiliiliiiiil.kd
    .uniform_work_group_size: 1
    .uses_dynamic_stack: false
    .vgpr_count:     66
    .vgpr_spill_count: 0
    .wavefront_size: 64
  - .agpr_count:     0
    .args:
      - .address_space:  global
        .offset:         0
        .size:           8
        .value_kind:     global_buffer
      - .address_space:  global
        .offset:         8
        .size:           8
        .value_kind:     global_buffer
      - .offset:         16
        .size:           4
        .value_kind:     by_value
      - .offset:         20
        .size:           4
        .value_kind:     by_value
      - .offset:         24
        .size:           4
        .value_kind:     by_value
      - .offset:         28
        .size:           4
        .value_kind:     by_value
      - .offset:         32
        .size:           4
        .value_kind:     by_value
      - .offset:         36
        .size:           4
        .value_kind:     by_value
      - .offset:         40
        .size:           12
        .value_kind:     by_value
      - .offset:         52
        .size:           12
        .value_kind:     by_value
      - .offset:         64
        .size:           12
        .value_kind:     by_value
    .group_segment_fixed_size: 0
    .kernarg_segment_align: 8
    .kernarg_segment_size: 76
    .language:       OpenCL C
    .language_version:
      - 2
      - 0
    .max_flat_workgroup_size: 128
    .name:           _ZL33flash_attn_stream_k_fixup_uniformILi128ELi1ELi8EEvPfPK15HIP_vector_typeIfLj2EEiiiiiiS1_IjLj3EES5_S5_
    .private_segment_fixed_size: 0
    .sgpr_count:     26
    .sgpr_spill_count: 0
    .symbol:         _ZL33flash_attn_stream_k_fixup_uniformILi128ELi1ELi8EEvPfPK15HIP_vector_typeIfLj2EEiiiiiiS1_IjLj3EES5_S5_.kd
    .uniform_work_group_size: 1
    .uses_dynamic_stack: false
    .vgpr_count:     17
    .vgpr_spill_count: 0
    .wavefront_size: 64
  - .agpr_count:     0
    .args:
      - .address_space:  global
        .offset:         0
        .size:           8
        .value_kind:     global_buffer
      - .address_space:  global
        .offset:         8
        .size:           8
        .value_kind:     global_buffer
      - .offset:         16
        .size:           4
        .value_kind:     by_value
      - .offset:         20
        .size:           4
        .value_kind:     by_value
      - .offset:         24
        .size:           4
        .value_kind:     by_value
      - .offset:         28
        .size:           4
        .value_kind:     by_value
      - .offset:         32
        .size:           12
        .value_kind:     by_value
      - .offset:         44
        .size:           12
        .value_kind:     by_value
      - .offset:         56
        .size:           12
        .value_kind:     by_value
      - .offset:         68
        .size:           12
        .value_kind:     by_value
      - .offset:         80
        .size:           4
        .value_kind:     hidden_block_count_x
      - .offset:         84
        .size:           4
        .value_kind:     hidden_block_count_y
      - .offset:         88
        .size:           4
        .value_kind:     hidden_block_count_z
      - .offset:         92
        .size:           2
        .value_kind:     hidden_group_size_x
      - .offset:         94
        .size:           2
        .value_kind:     hidden_group_size_y
      - .offset:         96
        .size:           2
        .value_kind:     hidden_group_size_z
      - .offset:         98
        .size:           2
        .value_kind:     hidden_remainder_x
      - .offset:         100
        .size:           2
        .value_kind:     hidden_remainder_y
      - .offset:         102
        .size:           2
        .value_kind:     hidden_remainder_z
      - .offset:         120
        .size:           8
        .value_kind:     hidden_global_offset_x
      - .offset:         128
        .size:           8
        .value_kind:     hidden_global_offset_y
      - .offset:         136
        .size:           8
        .value_kind:     hidden_global_offset_z
      - .offset:         144
        .size:           2
        .value_kind:     hidden_grid_dims
    .group_segment_fixed_size: 0
    .kernarg_segment_align: 8
    .kernarg_segment_size: 336
    .language:       OpenCL C
    .language_version:
      - 2
      - 0
    .max_flat_workgroup_size: 128
    .name:           _ZL33flash_attn_stream_k_fixup_generalILi128ELi1ELi8EEvPfPK15HIP_vector_typeIfLj2EEiiiiS1_IjLj3EES5_S5_S5_
    .private_segment_fixed_size: 0
    .sgpr_count:     43
    .sgpr_spill_count: 0
    .symbol:         _ZL33flash_attn_stream_k_fixup_generalILi128ELi1ELi8EEvPfPK15HIP_vector_typeIfLj2EEiiiiS1_IjLj3EES5_S5_S5_.kd
    .uniform_work_group_size: 1
    .uses_dynamic_stack: false
    .vgpr_count:     18
    .vgpr_spill_count: 0
    .wavefront_size: 64
  - .agpr_count:     0
    .args:
      - .address_space:  global
        .offset:         0
        .size:           8
        .value_kind:     global_buffer
      - .address_space:  global
        .offset:         8
        .size:           8
        .value_kind:     global_buffer
      - .address_space:  global
        .offset:         16
        .size:           8
        .value_kind:     global_buffer
      - .address_space:  global
        .offset:         24
        .size:           8
        .value_kind:     global_buffer
      - .address_space:  global
        .offset:         32
        .size:           8
        .value_kind:     global_buffer
      - .address_space:  global
        .offset:         40
        .size:           8
        .value_kind:     global_buffer
      - .address_space:  global
        .offset:         48
        .size:           8
        .value_kind:     global_buffer
      - .address_space:  global
        .offset:         56
        .size:           8
        .value_kind:     global_buffer
      - .offset:         64
        .size:           4
        .value_kind:     by_value
      - .offset:         68
        .size:           4
        .value_kind:     by_value
      - .offset:         72
        .size:           4
        .value_kind:     by_value
      - .offset:         76
        .size:           4
        .value_kind:     by_value
      - .offset:         80
        .size:           4
        .value_kind:     by_value
      - .offset:         84
        .size:           4
        .value_kind:     by_value
      - .offset:         88
        .size:           4
        .value_kind:     by_value
      - .offset:         92
        .size:           12
        .value_kind:     by_value
      - .offset:         104
        .size:           4
        .value_kind:     by_value
      - .offset:         108
        .size:           4
        .value_kind:     by_value
      - .offset:         112
        .size:           4
        .value_kind:     by_value
      - .offset:         116
        .size:           4
        .value_kind:     by_value
      - .offset:         120
        .size:           4
        .value_kind:     by_value
      - .offset:         124
        .size:           4
        .value_kind:     by_value
      - .offset:         128
        .size:           4
        .value_kind:     by_value
      - .offset:         132
        .size:           4
        .value_kind:     by_value
      - .offset:         136
        .size:           4
        .value_kind:     by_value
      - .offset:         140
        .size:           4
        .value_kind:     by_value
      - .offset:         144
        .size:           4
        .value_kind:     by_value
      - .offset:         152
        .size:           8
        .value_kind:     by_value
      - .offset:         160
        .size:           4
        .value_kind:     by_value
      - .offset:         164
        .size:           4
        .value_kind:     by_value
      - .offset:         168
        .size:           8
        .value_kind:     by_value
      - .offset:         176
        .size:           4
        .value_kind:     by_value
      - .offset:         180
        .size:           4
        .value_kind:     by_value
      - .offset:         184
        .size:           4
        .value_kind:     by_value
      - .offset:         188
        .size:           4
        .value_kind:     by_value
      - .offset:         192
        .size:           4
        .value_kind:     by_value
      - .offset:         200
        .size:           8
        .value_kind:     by_value
      - .offset:         208
        .size:           4
        .value_kind:     hidden_block_count_x
      - .offset:         212
        .size:           4
        .value_kind:     hidden_block_count_y
      - .offset:         216
        .size:           4
        .value_kind:     hidden_block_count_z
      - .offset:         220
        .size:           2
        .value_kind:     hidden_group_size_x
      - .offset:         222
        .size:           2
        .value_kind:     hidden_group_size_y
      - .offset:         224
        .size:           2
        .value_kind:     hidden_group_size_z
      - .offset:         226
        .size:           2
        .value_kind:     hidden_remainder_x
      - .offset:         228
        .size:           2
        .value_kind:     hidden_remainder_y
      - .offset:         230
        .size:           2
        .value_kind:     hidden_remainder_z
      - .offset:         248
        .size:           8
        .value_kind:     hidden_global_offset_x
      - .offset:         256
        .size:           8
        .value_kind:     hidden_global_offset_y
      - .offset:         264
        .size:           8
        .value_kind:     hidden_global_offset_z
      - .offset:         272
        .size:           2
        .value_kind:     hidden_grid_dims
    .group_segment_fixed_size: 18944
    .kernarg_segment_align: 8
    .kernarg_segment_size: 464
    .language:       OpenCL C
    .language_version:
      - 2
      - 0
    .max_flat_workgroup_size: 256
    .name:           _ZL15flash_attn_tileILi192ELi128ELi2ELi16ELb1EEvPKcS1_S1_S1_S1_PKiPfP15HIP_vector_typeIfLj2EEffffjfiS5_IjLj3EEiiiiiiiiiiiliiliiiiil
    .private_segment_fixed_size: 0
    .sgpr_count:     50
    .sgpr_spill_count: 0
    .symbol:         _ZL15flash_attn_tileILi192ELi128ELi2ELi16ELb1EEvPKcS1_S1_S1_S1_PKiPfP15HIP_vector_typeIfLj2EEffffjfiS5_IjLj3EEiiiiiiiiiiiliiliiiiil.kd
    .uniform_work_group_size: 1
    .uses_dynamic_stack: false
    .vgpr_count:     78
    .vgpr_spill_count: 0
    .wavefront_size: 64
  - .agpr_count:     0
    .args:
      - .address_space:  global
        .offset:         0
        .size:           8
        .value_kind:     global_buffer
      - .address_space:  global
        .offset:         8
        .size:           8
        .value_kind:     global_buffer
      - .address_space:  global
        .offset:         16
        .size:           8
        .value_kind:     global_buffer
      - .address_space:  global
        .offset:         24
        .size:           8
        .value_kind:     global_buffer
      - .address_space:  global
        .offset:         32
        .size:           8
        .value_kind:     global_buffer
      - .address_space:  global
        .offset:         40
        .size:           8
        .value_kind:     global_buffer
      - .address_space:  global
        .offset:         48
        .size:           8
        .value_kind:     global_buffer
      - .address_space:  global
        .offset:         56
        .size:           8
        .value_kind:     global_buffer
      - .offset:         64
        .size:           4
        .value_kind:     by_value
      - .offset:         68
        .size:           4
        .value_kind:     by_value
      - .offset:         72
        .size:           4
        .value_kind:     by_value
      - .offset:         76
        .size:           4
        .value_kind:     by_value
      - .offset:         80
        .size:           4
        .value_kind:     by_value
      - .offset:         84
        .size:           4
        .value_kind:     by_value
      - .offset:         88
        .size:           4
        .value_kind:     by_value
      - .offset:         92
        .size:           12
        .value_kind:     by_value
      - .offset:         104
        .size:           4
        .value_kind:     by_value
      - .offset:         108
        .size:           4
        .value_kind:     by_value
      - .offset:         112
        .size:           4
        .value_kind:     by_value
      - .offset:         116
        .size:           4
        .value_kind:     by_value
      - .offset:         120
        .size:           4
        .value_kind:     by_value
      - .offset:         124
        .size:           4
        .value_kind:     by_value
      - .offset:         128
        .size:           4
        .value_kind:     by_value
      - .offset:         132
        .size:           4
        .value_kind:     by_value
      - .offset:         136
        .size:           4
        .value_kind:     by_value
      - .offset:         140
        .size:           4
        .value_kind:     by_value
      - .offset:         144
        .size:           4
        .value_kind:     by_value
      - .offset:         152
        .size:           8
        .value_kind:     by_value
      - .offset:         160
        .size:           4
        .value_kind:     by_value
      - .offset:         164
        .size:           4
        .value_kind:     by_value
      - .offset:         168
        .size:           8
        .value_kind:     by_value
      - .offset:         176
        .size:           4
        .value_kind:     by_value
      - .offset:         180
        .size:           4
        .value_kind:     by_value
      - .offset:         184
        .size:           4
        .value_kind:     by_value
      - .offset:         188
        .size:           4
        .value_kind:     by_value
      - .offset:         192
        .size:           4
        .value_kind:     by_value
      - .offset:         200
        .size:           8
        .value_kind:     by_value
      - .offset:         208
        .size:           4
        .value_kind:     hidden_block_count_x
      - .offset:         212
        .size:           4
        .value_kind:     hidden_block_count_y
      - .offset:         216
        .size:           4
        .value_kind:     hidden_block_count_z
      - .offset:         220
        .size:           2
        .value_kind:     hidden_group_size_x
      - .offset:         222
        .size:           2
        .value_kind:     hidden_group_size_y
      - .offset:         224
        .size:           2
        .value_kind:     hidden_group_size_z
      - .offset:         226
        .size:           2
        .value_kind:     hidden_remainder_x
      - .offset:         228
        .size:           2
        .value_kind:     hidden_remainder_y
      - .offset:         230
        .size:           2
        .value_kind:     hidden_remainder_z
      - .offset:         248
        .size:           8
        .value_kind:     hidden_global_offset_x
      - .offset:         256
        .size:           8
        .value_kind:     hidden_global_offset_y
      - .offset:         264
        .size:           8
        .value_kind:     hidden_global_offset_z
      - .offset:         272
        .size:           2
        .value_kind:     hidden_grid_dims
    .group_segment_fixed_size: 11776
    .kernarg_segment_align: 8
    .kernarg_segment_size: 464
    .language:       OpenCL C
    .language_version:
      - 2
      - 0
    .max_flat_workgroup_size: 256
    .name:           _ZL15flash_attn_tileILi192ELi128ELi1ELi16ELb1EEvPKcS1_S1_S1_S1_PKiPfP15HIP_vector_typeIfLj2EEffffjfiS5_IjLj3EEiiiiiiiiiiiliiliiiiil
    .private_segment_fixed_size: 0
    .sgpr_count:     50
    .sgpr_spill_count: 0
    .symbol:         _ZL15flash_attn_tileILi192ELi128ELi1ELi16ELb1EEvPKcS1_S1_S1_S1_PKiPfP15HIP_vector_typeIfLj2EEffffjfiS5_IjLj3EEiiiiiiiiiiiliiliiiiil.kd
    .uniform_work_group_size: 1
    .uses_dynamic_stack: false
    .vgpr_count:     87
    .vgpr_spill_count: 0
    .wavefront_size: 64
  - .agpr_count:     0
    .args:
      - .address_space:  global
        .offset:         0
        .size:           8
        .value_kind:     global_buffer
      - .address_space:  global
        .offset:         8
        .size:           8
        .value_kind:     global_buffer
      - .address_space:  global
        .offset:         16
        .size:           8
        .value_kind:     global_buffer
      - .address_space:  global
        .offset:         24
        .size:           8
        .value_kind:     global_buffer
      - .address_space:  global
        .offset:         32
        .size:           8
        .value_kind:     global_buffer
      - .address_space:  global
        .offset:         40
        .size:           8
        .value_kind:     global_buffer
      - .address_space:  global
        .offset:         48
        .size:           8
        .value_kind:     global_buffer
      - .address_space:  global
        .offset:         56
        .size:           8
        .value_kind:     global_buffer
      - .offset:         64
        .size:           4
        .value_kind:     by_value
      - .offset:         68
        .size:           4
        .value_kind:     by_value
      - .offset:         72
        .size:           4
        .value_kind:     by_value
      - .offset:         76
        .size:           4
        .value_kind:     by_value
      - .offset:         80
        .size:           4
        .value_kind:     by_value
      - .offset:         84
        .size:           4
        .value_kind:     by_value
      - .offset:         88
        .size:           4
        .value_kind:     by_value
      - .offset:         92
        .size:           12
        .value_kind:     by_value
      - .offset:         104
        .size:           4
        .value_kind:     by_value
      - .offset:         108
        .size:           4
        .value_kind:     by_value
      - .offset:         112
        .size:           4
        .value_kind:     by_value
      - .offset:         116
        .size:           4
        .value_kind:     by_value
      - .offset:         120
        .size:           4
        .value_kind:     by_value
      - .offset:         124
        .size:           4
        .value_kind:     by_value
      - .offset:         128
        .size:           4
        .value_kind:     by_value
      - .offset:         132
        .size:           4
        .value_kind:     by_value
      - .offset:         136
        .size:           4
        .value_kind:     by_value
      - .offset:         140
        .size:           4
        .value_kind:     by_value
      - .offset:         144
        .size:           4
        .value_kind:     by_value
      - .offset:         152
        .size:           8
        .value_kind:     by_value
      - .offset:         160
        .size:           4
        .value_kind:     by_value
      - .offset:         164
        .size:           4
        .value_kind:     by_value
      - .offset:         168
        .size:           8
        .value_kind:     by_value
      - .offset:         176
        .size:           4
        .value_kind:     by_value
      - .offset:         180
        .size:           4
        .value_kind:     by_value
      - .offset:         184
        .size:           4
        .value_kind:     by_value
      - .offset:         188
        .size:           4
        .value_kind:     by_value
      - .offset:         192
        .size:           4
        .value_kind:     by_value
      - .offset:         200
        .size:           8
        .value_kind:     by_value
      - .offset:         208
        .size:           4
        .value_kind:     hidden_block_count_x
      - .offset:         212
        .size:           4
        .value_kind:     hidden_block_count_y
      - .offset:         216
        .size:           4
        .value_kind:     hidden_block_count_z
      - .offset:         220
        .size:           2
        .value_kind:     hidden_group_size_x
      - .offset:         222
        .size:           2
        .value_kind:     hidden_group_size_y
      - .offset:         224
        .size:           2
        .value_kind:     hidden_group_size_z
      - .offset:         226
        .size:           2
        .value_kind:     hidden_remainder_x
      - .offset:         228
        .size:           2
        .value_kind:     hidden_remainder_y
      - .offset:         230
        .size:           2
        .value_kind:     hidden_remainder_z
      - .offset:         248
        .size:           8
        .value_kind:     hidden_global_offset_x
      - .offset:         256
        .size:           8
        .value_kind:     hidden_global_offset_y
      - .offset:         264
        .size:           8
        .value_kind:     hidden_global_offset_z
      - .offset:         272
        .size:           2
        .value_kind:     hidden_grid_dims
    .group_segment_fixed_size: 18944
    .kernarg_segment_align: 8
    .kernarg_segment_size: 464
    .language:       OpenCL C
    .language_version:
      - 2
      - 0
    .max_flat_workgroup_size: 256
    .name:           _ZL15flash_attn_tileILi192ELi128ELi4ELi8ELb1EEvPKcS1_S1_S1_S1_PKiPfP15HIP_vector_typeIfLj2EEffffjfiS5_IjLj3EEiiiiiiiiiiiliiliiiiil
    .private_segment_fixed_size: 0
    .sgpr_count:     50
    .sgpr_spill_count: 0
    .symbol:         _ZL15flash_attn_tileILi192ELi128ELi4ELi8ELb1EEvPKcS1_S1_S1_S1_PKiPfP15HIP_vector_typeIfLj2EEffffjfiS5_IjLj3EEiiiiiiiiiiiliiliiiiil.kd
    .uniform_work_group_size: 1
    .uses_dynamic_stack: false
    .vgpr_count:     78
    .vgpr_spill_count: 0
    .wavefront_size: 64
  - .agpr_count:     0
    .args:
      - .address_space:  global
        .offset:         0
        .size:           8
        .value_kind:     global_buffer
      - .address_space:  global
        .offset:         8
        .size:           8
        .value_kind:     global_buffer
      - .address_space:  global
        .offset:         16
        .size:           8
        .value_kind:     global_buffer
      - .address_space:  global
        .offset:         24
        .size:           8
        .value_kind:     global_buffer
      - .address_space:  global
        .offset:         32
        .size:           8
        .value_kind:     global_buffer
      - .address_space:  global
        .offset:         40
        .size:           8
        .value_kind:     global_buffer
      - .address_space:  global
        .offset:         48
        .size:           8
        .value_kind:     global_buffer
      - .address_space:  global
        .offset:         56
        .size:           8
        .value_kind:     global_buffer
      - .offset:         64
        .size:           4
        .value_kind:     by_value
      - .offset:         68
        .size:           4
        .value_kind:     by_value
      - .offset:         72
        .size:           4
        .value_kind:     by_value
      - .offset:         76
        .size:           4
        .value_kind:     by_value
      - .offset:         80
        .size:           4
        .value_kind:     by_value
      - .offset:         84
        .size:           4
        .value_kind:     by_value
      - .offset:         88
        .size:           4
        .value_kind:     by_value
      - .offset:         92
        .size:           12
        .value_kind:     by_value
      - .offset:         104
        .size:           4
        .value_kind:     by_value
      - .offset:         108
        .size:           4
        .value_kind:     by_value
      - .offset:         112
        .size:           4
        .value_kind:     by_value
      - .offset:         116
        .size:           4
        .value_kind:     by_value
      - .offset:         120
        .size:           4
        .value_kind:     by_value
      - .offset:         124
        .size:           4
        .value_kind:     by_value
      - .offset:         128
        .size:           4
        .value_kind:     by_value
      - .offset:         132
        .size:           4
        .value_kind:     by_value
      - .offset:         136
        .size:           4
        .value_kind:     by_value
      - .offset:         140
        .size:           4
        .value_kind:     by_value
      - .offset:         144
        .size:           4
        .value_kind:     by_value
      - .offset:         152
        .size:           8
        .value_kind:     by_value
      - .offset:         160
        .size:           4
        .value_kind:     by_value
      - .offset:         164
        .size:           4
        .value_kind:     by_value
      - .offset:         168
        .size:           8
        .value_kind:     by_value
      - .offset:         176
        .size:           4
        .value_kind:     by_value
      - .offset:         180
        .size:           4
        .value_kind:     by_value
      - .offset:         184
        .size:           4
        .value_kind:     by_value
      - .offset:         188
        .size:           4
        .value_kind:     by_value
      - .offset:         192
        .size:           4
        .value_kind:     by_value
      - .offset:         200
        .size:           8
        .value_kind:     by_value
      - .offset:         208
        .size:           4
        .value_kind:     hidden_block_count_x
      - .offset:         212
        .size:           4
        .value_kind:     hidden_block_count_y
      - .offset:         216
        .size:           4
        .value_kind:     hidden_block_count_z
      - .offset:         220
        .size:           2
        .value_kind:     hidden_group_size_x
      - .offset:         222
        .size:           2
        .value_kind:     hidden_group_size_y
      - .offset:         224
        .size:           2
        .value_kind:     hidden_group_size_z
      - .offset:         226
        .size:           2
        .value_kind:     hidden_remainder_x
      - .offset:         228
        .size:           2
        .value_kind:     hidden_remainder_y
      - .offset:         230
        .size:           2
        .value_kind:     hidden_remainder_z
      - .offset:         248
        .size:           8
        .value_kind:     hidden_global_offset_x
      - .offset:         256
        .size:           8
        .value_kind:     hidden_global_offset_y
      - .offset:         264
        .size:           8
        .value_kind:     hidden_global_offset_z
      - .offset:         272
        .size:           2
        .value_kind:     hidden_grid_dims
    .group_segment_fixed_size: 11776
    .kernarg_segment_align: 8
    .kernarg_segment_size: 464
    .language:       OpenCL C
    .language_version:
      - 2
      - 0
    .max_flat_workgroup_size: 256
    .name:           _ZL15flash_attn_tileILi192ELi128ELi2ELi8ELb1EEvPKcS1_S1_S1_S1_PKiPfP15HIP_vector_typeIfLj2EEffffjfiS5_IjLj3EEiiiiiiiiiiiliiliiiiil
    .private_segment_fixed_size: 0
    .sgpr_count:     50
    .sgpr_spill_count: 0
    .symbol:         _ZL15flash_attn_tileILi192ELi128ELi2ELi8ELb1EEvPKcS1_S1_S1_S1_PKiPfP15HIP_vector_typeIfLj2EEffffjfiS5_IjLj3EEiiiiiiiiiiiliiliiiiil.kd
    .uniform_work_group_size: 1
    .uses_dynamic_stack: false
    .vgpr_count:     85
    .vgpr_spill_count: 0
    .wavefront_size: 64
  - .agpr_count:     0
    .args:
      - .address_space:  global
        .offset:         0
        .size:           8
        .value_kind:     global_buffer
      - .address_space:  global
        .offset:         8
        .size:           8
        .value_kind:     global_buffer
      - .address_space:  global
        .offset:         16
        .size:           8
        .value_kind:     global_buffer
      - .address_space:  global
        .offset:         24
        .size:           8
        .value_kind:     global_buffer
      - .address_space:  global
        .offset:         32
        .size:           8
        .value_kind:     global_buffer
      - .address_space:  global
        .offset:         40
        .size:           8
        .value_kind:     global_buffer
      - .address_space:  global
        .offset:         48
        .size:           8
        .value_kind:     global_buffer
      - .address_space:  global
        .offset:         56
        .size:           8
        .value_kind:     global_buffer
      - .offset:         64
        .size:           4
        .value_kind:     by_value
      - .offset:         68
        .size:           4
        .value_kind:     by_value
      - .offset:         72
        .size:           4
        .value_kind:     by_value
      - .offset:         76
        .size:           4
        .value_kind:     by_value
      - .offset:         80
        .size:           4
        .value_kind:     by_value
      - .offset:         84
        .size:           4
        .value_kind:     by_value
      - .offset:         88
        .size:           4
        .value_kind:     by_value
      - .offset:         92
        .size:           12
        .value_kind:     by_value
      - .offset:         104
        .size:           4
        .value_kind:     by_value
      - .offset:         108
        .size:           4
        .value_kind:     by_value
      - .offset:         112
        .size:           4
        .value_kind:     by_value
      - .offset:         116
        .size:           4
        .value_kind:     by_value
      - .offset:         120
        .size:           4
        .value_kind:     by_value
      - .offset:         124
        .size:           4
        .value_kind:     by_value
      - .offset:         128
        .size:           4
        .value_kind:     by_value
      - .offset:         132
        .size:           4
        .value_kind:     by_value
      - .offset:         136
        .size:           4
        .value_kind:     by_value
      - .offset:         140
        .size:           4
        .value_kind:     by_value
      - .offset:         144
        .size:           4
        .value_kind:     by_value
      - .offset:         152
        .size:           8
        .value_kind:     by_value
      - .offset:         160
        .size:           4
        .value_kind:     by_value
      - .offset:         164
        .size:           4
        .value_kind:     by_value
      - .offset:         168
        .size:           8
        .value_kind:     by_value
      - .offset:         176
        .size:           4
        .value_kind:     by_value
      - .offset:         180
        .size:           4
        .value_kind:     by_value
      - .offset:         184
        .size:           4
        .value_kind:     by_value
      - .offset:         188
        .size:           4
        .value_kind:     by_value
      - .offset:         192
        .size:           4
        .value_kind:     by_value
      - .offset:         200
        .size:           8
        .value_kind:     by_value
      - .offset:         208
        .size:           4
        .value_kind:     hidden_block_count_x
      - .offset:         212
        .size:           4
        .value_kind:     hidden_block_count_y
      - .offset:         216
        .size:           4
        .value_kind:     hidden_block_count_z
      - .offset:         220
        .size:           2
        .value_kind:     hidden_group_size_x
      - .offset:         222
        .size:           2
        .value_kind:     hidden_group_size_y
      - .offset:         224
        .size:           2
        .value_kind:     hidden_group_size_z
      - .offset:         226
        .size:           2
        .value_kind:     hidden_remainder_x
      - .offset:         228
        .size:           2
        .value_kind:     hidden_remainder_y
      - .offset:         230
        .size:           2
        .value_kind:     hidden_remainder_z
      - .offset:         248
        .size:           8
        .value_kind:     hidden_global_offset_x
      - .offset:         256
        .size:           8
        .value_kind:     hidden_global_offset_y
      - .offset:         264
        .size:           8
        .value_kind:     hidden_global_offset_z
      - .offset:         272
        .size:           2
        .value_kind:     hidden_grid_dims
    .group_segment_fixed_size: 13312
    .kernarg_segment_align: 8
    .kernarg_segment_size: 464
    .language:       OpenCL C
    .language_version:
      - 2
      - 0
    .max_flat_workgroup_size: 256
    .name:           _ZL15flash_attn_tileILi192ELi128ELi1ELi8ELb1EEvPKcS1_S1_S1_S1_PKiPfP15HIP_vector_typeIfLj2EEffffjfiS5_IjLj3EEiiiiiiiiiiiliiliiiiil
    .private_segment_fixed_size: 0
    .sgpr_count:     46
    .sgpr_spill_count: 0
    .symbol:         _ZL15flash_attn_tileILi192ELi128ELi1ELi8ELb1EEvPKcS1_S1_S1_S1_PKiPfP15HIP_vector_typeIfLj2EEffffjfiS5_IjLj3EEiiiiiiiiiiiliiliiiiil.kd
    .uniform_work_group_size: 1
    .uses_dynamic_stack: false
    .vgpr_count:     94
    .vgpr_spill_count: 0
    .wavefront_size: 64
amdhsa.target:   amdgcn-amd-amdhsa--gfx950
amdhsa.version:
  - 1
  - 2
...

	.end_amdgpu_metadata
